;; amdgpu-corpus repo=ROCm/hipCUB kind=compiled arch=gfx90a opt=O3
	.text
	.amdgcn_target "amdgcn-amd-amdhsa--gfx90a"
	.amdhsa_code_object_version 6
	.section	.text._Z6kernelI18blocked_to_stripediLj256ELj1ELj100EEvPKT0_PKjPS1_,"axG",@progbits,_Z6kernelI18blocked_to_stripediLj256ELj1ELj100EEvPKT0_PKjPS1_,comdat
	.protected	_Z6kernelI18blocked_to_stripediLj256ELj1ELj100EEvPKT0_PKjPS1_ ; -- Begin function _Z6kernelI18blocked_to_stripediLj256ELj1ELj100EEvPKT0_PKjPS1_
	.globl	_Z6kernelI18blocked_to_stripediLj256ELj1ELj100EEvPKT0_PKjPS1_
	.p2align	8
	.type	_Z6kernelI18blocked_to_stripediLj256ELj1ELj100EEvPKT0_PKjPS1_,@function
_Z6kernelI18blocked_to_stripediLj256ELj1ELj100EEvPKT0_PKjPS1_: ; @_Z6kernelI18blocked_to_stripediLj256ELj1ELj100EEvPKT0_PKjPS1_
; %bb.0:
	s_load_dwordx2 s[2:3], s[4:5], 0x0
	s_lshl_b32 s0, s6, 8
	s_mov_b32 s1, 0
	s_lshl_b64 s[0:1], s[0:1], 2
	v_lshlrev_b32_e32 v2, 2, v0
	s_waitcnt lgkmcnt(0)
	s_add_u32 s2, s2, s0
	s_addc_u32 s3, s3, s1
	global_load_dword v1, v2, s[2:3]
	s_movk_i32 s2, 0x64
.LBB0_1:                                ; =>This Inner Loop Header: Depth=1
	s_waitcnt vmcnt(0)
	ds_write_b32 v2, v1
	s_waitcnt lgkmcnt(0)
	s_barrier
	ds_read_b32 v1, v2
	s_add_i32 s2, s2, -1
	s_cmp_lg_u32 s2, 0
	s_waitcnt lgkmcnt(0)
	s_barrier
	s_cbranch_scc1 .LBB0_1
; %bb.2:
	s_load_dwordx2 s[2:3], s[4:5], 0x10
	v_lshlrev_b32_e32 v0, 2, v0
	s_waitcnt lgkmcnt(0)
	s_add_u32 s0, s2, s0
	s_addc_u32 s1, s3, s1
	global_store_dword v0, v1, s[0:1]
	s_endpgm
	.section	.rodata,"a",@progbits
	.p2align	6, 0x0
	.amdhsa_kernel _Z6kernelI18blocked_to_stripediLj256ELj1ELj100EEvPKT0_PKjPS1_
		.amdhsa_group_segment_fixed_size 1024
		.amdhsa_private_segment_fixed_size 0
		.amdhsa_kernarg_size 24
		.amdhsa_user_sgpr_count 6
		.amdhsa_user_sgpr_private_segment_buffer 1
		.amdhsa_user_sgpr_dispatch_ptr 0
		.amdhsa_user_sgpr_queue_ptr 0
		.amdhsa_user_sgpr_kernarg_segment_ptr 1
		.amdhsa_user_sgpr_dispatch_id 0
		.amdhsa_user_sgpr_flat_scratch_init 0
		.amdhsa_user_sgpr_kernarg_preload_length 0
		.amdhsa_user_sgpr_kernarg_preload_offset 0
		.amdhsa_user_sgpr_private_segment_size 0
		.amdhsa_uses_dynamic_stack 0
		.amdhsa_system_sgpr_private_segment_wavefront_offset 0
		.amdhsa_system_sgpr_workgroup_id_x 1
		.amdhsa_system_sgpr_workgroup_id_y 0
		.amdhsa_system_sgpr_workgroup_id_z 0
		.amdhsa_system_sgpr_workgroup_info 0
		.amdhsa_system_vgpr_workitem_id 0
		.amdhsa_next_free_vgpr 3
		.amdhsa_next_free_sgpr 7
		.amdhsa_accum_offset 4
		.amdhsa_reserve_vcc 0
		.amdhsa_reserve_flat_scratch 0
		.amdhsa_float_round_mode_32 0
		.amdhsa_float_round_mode_16_64 0
		.amdhsa_float_denorm_mode_32 3
		.amdhsa_float_denorm_mode_16_64 3
		.amdhsa_dx10_clamp 1
		.amdhsa_ieee_mode 1
		.amdhsa_fp16_overflow 0
		.amdhsa_tg_split 0
		.amdhsa_exception_fp_ieee_invalid_op 0
		.amdhsa_exception_fp_denorm_src 0
		.amdhsa_exception_fp_ieee_div_zero 0
		.amdhsa_exception_fp_ieee_overflow 0
		.amdhsa_exception_fp_ieee_underflow 0
		.amdhsa_exception_fp_ieee_inexact 0
		.amdhsa_exception_int_div_zero 0
	.end_amdhsa_kernel
	.section	.text._Z6kernelI18blocked_to_stripediLj256ELj1ELj100EEvPKT0_PKjPS1_,"axG",@progbits,_Z6kernelI18blocked_to_stripediLj256ELj1ELj100EEvPKT0_PKjPS1_,comdat
.Lfunc_end0:
	.size	_Z6kernelI18blocked_to_stripediLj256ELj1ELj100EEvPKT0_PKjPS1_, .Lfunc_end0-_Z6kernelI18blocked_to_stripediLj256ELj1ELj100EEvPKT0_PKjPS1_
                                        ; -- End function
	.section	.AMDGPU.csdata,"",@progbits
; Kernel info:
; codeLenInByte = 132
; NumSgprs: 11
; NumVgprs: 3
; NumAgprs: 0
; TotalNumVgprs: 3
; ScratchSize: 0
; MemoryBound: 0
; FloatMode: 240
; IeeeMode: 1
; LDSByteSize: 1024 bytes/workgroup (compile time only)
; SGPRBlocks: 1
; VGPRBlocks: 0
; NumSGPRsForWavesPerEU: 11
; NumVGPRsForWavesPerEU: 3
; AccumOffset: 4
; Occupancy: 8
; WaveLimiterHint : 0
; COMPUTE_PGM_RSRC2:SCRATCH_EN: 0
; COMPUTE_PGM_RSRC2:USER_SGPR: 6
; COMPUTE_PGM_RSRC2:TRAP_HANDLER: 0
; COMPUTE_PGM_RSRC2:TGID_X_EN: 1
; COMPUTE_PGM_RSRC2:TGID_Y_EN: 0
; COMPUTE_PGM_RSRC2:TGID_Z_EN: 0
; COMPUTE_PGM_RSRC2:TIDIG_COMP_CNT: 0
; COMPUTE_PGM_RSRC3_GFX90A:ACCUM_OFFSET: 0
; COMPUTE_PGM_RSRC3_GFX90A:TG_SPLIT: 0
	.section	.text._Z6kernelI18blocked_to_stripediLj256ELj2ELj100EEvPKT0_PKjPS1_,"axG",@progbits,_Z6kernelI18blocked_to_stripediLj256ELj2ELj100EEvPKT0_PKjPS1_,comdat
	.protected	_Z6kernelI18blocked_to_stripediLj256ELj2ELj100EEvPKT0_PKjPS1_ ; -- Begin function _Z6kernelI18blocked_to_stripediLj256ELj2ELj100EEvPKT0_PKjPS1_
	.globl	_Z6kernelI18blocked_to_stripediLj256ELj2ELj100EEvPKT0_PKjPS1_
	.p2align	8
	.type	_Z6kernelI18blocked_to_stripediLj256ELj2ELj100EEvPKT0_PKjPS1_,@function
_Z6kernelI18blocked_to_stripediLj256ELj2ELj100EEvPKT0_PKjPS1_: ; @_Z6kernelI18blocked_to_stripediLj256ELj2ELj100EEvPKT0_PKjPS1_
; %bb.0:
	s_load_dwordx2 s[2:3], s[4:5], 0x0
	s_lshl_b32 s0, s6, 9
	s_mov_b32 s1, 0
	s_lshl_b64 s[0:1], s[0:1], 2
	v_lshlrev_b32_e32 v1, 3, v0
	s_waitcnt lgkmcnt(0)
	s_add_u32 s2, s2, s0
	s_addc_u32 s3, s3, s1
	global_load_dwordx2 v[2:3], v1, s[2:3]
	v_lshrrev_b32_e32 v4, 2, v0
	v_and_b32_e32 v4, 60, v4
	v_or_b32_e32 v5, 0x100, v0
	v_add_u32_e32 v1, v4, v1
	v_lshrrev_b32_e32 v4, 5, v0
	v_lshrrev_b32_e32 v5, 5, v5
	v_add_lshl_u32 v4, v4, v0, 2
	v_add_lshl_u32 v5, v5, v0, 2
	s_movk_i32 s2, 0x64
.LBB1_1:                                ; =>This Inner Loop Header: Depth=1
	s_waitcnt vmcnt(0)
	ds_write2_b32 v1, v2, v3 offset1:1
	s_waitcnt lgkmcnt(0)
	s_barrier
	ds_read_b32 v2, v4
	ds_read_b32 v3, v5 offset:1024
	s_add_i32 s2, s2, -1
	s_cmp_lg_u32 s2, 0
	s_waitcnt lgkmcnt(0)
	s_barrier
	s_cbranch_scc1 .LBB1_1
; %bb.2:
	s_load_dwordx2 s[2:3], s[4:5], 0x10
	v_lshlrev_b32_e32 v0, 2, v0
	s_waitcnt lgkmcnt(0)
	s_add_u32 s0, s2, s0
	s_addc_u32 s1, s3, s1
	global_store_dword v0, v2, s[0:1]
	global_store_dword v0, v3, s[0:1] offset:1024
	s_endpgm
	.section	.rodata,"a",@progbits
	.p2align	6, 0x0
	.amdhsa_kernel _Z6kernelI18blocked_to_stripediLj256ELj2ELj100EEvPKT0_PKjPS1_
		.amdhsa_group_segment_fixed_size 2112
		.amdhsa_private_segment_fixed_size 0
		.amdhsa_kernarg_size 24
		.amdhsa_user_sgpr_count 6
		.amdhsa_user_sgpr_private_segment_buffer 1
		.amdhsa_user_sgpr_dispatch_ptr 0
		.amdhsa_user_sgpr_queue_ptr 0
		.amdhsa_user_sgpr_kernarg_segment_ptr 1
		.amdhsa_user_sgpr_dispatch_id 0
		.amdhsa_user_sgpr_flat_scratch_init 0
		.amdhsa_user_sgpr_kernarg_preload_length 0
		.amdhsa_user_sgpr_kernarg_preload_offset 0
		.amdhsa_user_sgpr_private_segment_size 0
		.amdhsa_uses_dynamic_stack 0
		.amdhsa_system_sgpr_private_segment_wavefront_offset 0
		.amdhsa_system_sgpr_workgroup_id_x 1
		.amdhsa_system_sgpr_workgroup_id_y 0
		.amdhsa_system_sgpr_workgroup_id_z 0
		.amdhsa_system_sgpr_workgroup_info 0
		.amdhsa_system_vgpr_workitem_id 0
		.amdhsa_next_free_vgpr 6
		.amdhsa_next_free_sgpr 7
		.amdhsa_accum_offset 8
		.amdhsa_reserve_vcc 0
		.amdhsa_reserve_flat_scratch 0
		.amdhsa_float_round_mode_32 0
		.amdhsa_float_round_mode_16_64 0
		.amdhsa_float_denorm_mode_32 3
		.amdhsa_float_denorm_mode_16_64 3
		.amdhsa_dx10_clamp 1
		.amdhsa_ieee_mode 1
		.amdhsa_fp16_overflow 0
		.amdhsa_tg_split 0
		.amdhsa_exception_fp_ieee_invalid_op 0
		.amdhsa_exception_fp_denorm_src 0
		.amdhsa_exception_fp_ieee_div_zero 0
		.amdhsa_exception_fp_ieee_overflow 0
		.amdhsa_exception_fp_ieee_underflow 0
		.amdhsa_exception_fp_ieee_inexact 0
		.amdhsa_exception_int_div_zero 0
	.end_amdhsa_kernel
	.section	.text._Z6kernelI18blocked_to_stripediLj256ELj2ELj100EEvPKT0_PKjPS1_,"axG",@progbits,_Z6kernelI18blocked_to_stripediLj256ELj2ELj100EEvPKT0_PKjPS1_,comdat
.Lfunc_end1:
	.size	_Z6kernelI18blocked_to_stripediLj256ELj2ELj100EEvPKT0_PKjPS1_, .Lfunc_end1-_Z6kernelI18blocked_to_stripediLj256ELj2ELj100EEvPKT0_PKjPS1_
                                        ; -- End function
	.section	.AMDGPU.csdata,"",@progbits
; Kernel info:
; codeLenInByte = 192
; NumSgprs: 11
; NumVgprs: 6
; NumAgprs: 0
; TotalNumVgprs: 6
; ScratchSize: 0
; MemoryBound: 0
; FloatMode: 240
; IeeeMode: 1
; LDSByteSize: 2112 bytes/workgroup (compile time only)
; SGPRBlocks: 1
; VGPRBlocks: 0
; NumSGPRsForWavesPerEU: 11
; NumVGPRsForWavesPerEU: 6
; AccumOffset: 8
; Occupancy: 8
; WaveLimiterHint : 1
; COMPUTE_PGM_RSRC2:SCRATCH_EN: 0
; COMPUTE_PGM_RSRC2:USER_SGPR: 6
; COMPUTE_PGM_RSRC2:TRAP_HANDLER: 0
; COMPUTE_PGM_RSRC2:TGID_X_EN: 1
; COMPUTE_PGM_RSRC2:TGID_Y_EN: 0
; COMPUTE_PGM_RSRC2:TGID_Z_EN: 0
; COMPUTE_PGM_RSRC2:TIDIG_COMP_CNT: 0
; COMPUTE_PGM_RSRC3_GFX90A:ACCUM_OFFSET: 1
; COMPUTE_PGM_RSRC3_GFX90A:TG_SPLIT: 0
	.section	.text._Z6kernelI18blocked_to_stripediLj256ELj3ELj100EEvPKT0_PKjPS1_,"axG",@progbits,_Z6kernelI18blocked_to_stripediLj256ELj3ELj100EEvPKT0_PKjPS1_,comdat
	.protected	_Z6kernelI18blocked_to_stripediLj256ELj3ELj100EEvPKT0_PKjPS1_ ; -- Begin function _Z6kernelI18blocked_to_stripediLj256ELj3ELj100EEvPKT0_PKjPS1_
	.globl	_Z6kernelI18blocked_to_stripediLj256ELj3ELj100EEvPKT0_PKjPS1_
	.p2align	8
	.type	_Z6kernelI18blocked_to_stripediLj256ELj3ELj100EEvPKT0_PKjPS1_,@function
_Z6kernelI18blocked_to_stripediLj256ELj3ELj100EEvPKT0_PKjPS1_: ; @_Z6kernelI18blocked_to_stripediLj256ELj3ELj100EEvPKT0_PKjPS1_
; %bb.0:
	s_load_dwordx2 s[2:3], s[4:5], 0x0
	s_mul_i32 s0, s6, 0x300
	s_mov_b32 s1, 0
	s_lshl_b64 s[0:1], s[0:1], 2
	v_mul_u32_u24_e32 v1, 3, v0
	s_waitcnt lgkmcnt(0)
	s_add_u32 s2, s2, s0
	s_addc_u32 s3, s3, s1
	v_lshlrev_b32_e32 v1, 2, v1
	global_load_dwordx3 v[2:4], v1, s[2:3]
	v_lshlrev_b32_e32 v5, 3, v0
	v_sub_u32_e32 v5, 0, v5
	s_movk_i32 s2, 0x64
	v_add_u32_e32 v5, v1, v5
.LBB2_1:                                ; =>This Inner Loop Header: Depth=1
	s_waitcnt vmcnt(0)
	ds_write2_b32 v1, v2, v3 offset1:1
	ds_write_b32 v1, v4 offset:8
	s_waitcnt lgkmcnt(0)
	s_barrier
	ds_read2st64_b32 v[2:3], v5 offset1:4
	ds_read_b32 v4, v5 offset:2048
	s_add_i32 s2, s2, -1
	s_cmp_lg_u32 s2, 0
	s_waitcnt lgkmcnt(0)
	s_barrier
	s_cbranch_scc1 .LBB2_1
; %bb.2:
	s_load_dwordx2 s[2:3], s[4:5], 0x10
	v_lshlrev_b32_e32 v0, 2, v0
	s_waitcnt lgkmcnt(0)
	s_add_u32 s0, s2, s0
	s_addc_u32 s1, s3, s1
	global_store_dword v0, v2, s[0:1]
	global_store_dword v0, v3, s[0:1] offset:1024
	global_store_dword v0, v4, s[0:1] offset:2048
	s_endpgm
	.section	.rodata,"a",@progbits
	.p2align	6, 0x0
	.amdhsa_kernel _Z6kernelI18blocked_to_stripediLj256ELj3ELj100EEvPKT0_PKjPS1_
		.amdhsa_group_segment_fixed_size 3072
		.amdhsa_private_segment_fixed_size 0
		.amdhsa_kernarg_size 24
		.amdhsa_user_sgpr_count 6
		.amdhsa_user_sgpr_private_segment_buffer 1
		.amdhsa_user_sgpr_dispatch_ptr 0
		.amdhsa_user_sgpr_queue_ptr 0
		.amdhsa_user_sgpr_kernarg_segment_ptr 1
		.amdhsa_user_sgpr_dispatch_id 0
		.amdhsa_user_sgpr_flat_scratch_init 0
		.amdhsa_user_sgpr_kernarg_preload_length 0
		.amdhsa_user_sgpr_kernarg_preload_offset 0
		.amdhsa_user_sgpr_private_segment_size 0
		.amdhsa_uses_dynamic_stack 0
		.amdhsa_system_sgpr_private_segment_wavefront_offset 0
		.amdhsa_system_sgpr_workgroup_id_x 1
		.amdhsa_system_sgpr_workgroup_id_y 0
		.amdhsa_system_sgpr_workgroup_id_z 0
		.amdhsa_system_sgpr_workgroup_info 0
		.amdhsa_system_vgpr_workitem_id 0
		.amdhsa_next_free_vgpr 6
		.amdhsa_next_free_sgpr 7
		.amdhsa_accum_offset 8
		.amdhsa_reserve_vcc 0
		.amdhsa_reserve_flat_scratch 0
		.amdhsa_float_round_mode_32 0
		.amdhsa_float_round_mode_16_64 0
		.amdhsa_float_denorm_mode_32 3
		.amdhsa_float_denorm_mode_16_64 3
		.amdhsa_dx10_clamp 1
		.amdhsa_ieee_mode 1
		.amdhsa_fp16_overflow 0
		.amdhsa_tg_split 0
		.amdhsa_exception_fp_ieee_invalid_op 0
		.amdhsa_exception_fp_denorm_src 0
		.amdhsa_exception_fp_ieee_div_zero 0
		.amdhsa_exception_fp_ieee_overflow 0
		.amdhsa_exception_fp_ieee_underflow 0
		.amdhsa_exception_fp_ieee_inexact 0
		.amdhsa_exception_int_div_zero 0
	.end_amdhsa_kernel
	.section	.text._Z6kernelI18blocked_to_stripediLj256ELj3ELj100EEvPKT0_PKjPS1_,"axG",@progbits,_Z6kernelI18blocked_to_stripediLj256ELj3ELj100EEvPKT0_PKjPS1_,comdat
.Lfunc_end2:
	.size	_Z6kernelI18blocked_to_stripediLj256ELj3ELj100EEvPKT0_PKjPS1_, .Lfunc_end2-_Z6kernelI18blocked_to_stripediLj256ELj3ELj100EEvPKT0_PKjPS1_
                                        ; -- End function
	.section	.AMDGPU.csdata,"",@progbits
; Kernel info:
; codeLenInByte = 184
; NumSgprs: 11
; NumVgprs: 6
; NumAgprs: 0
; TotalNumVgprs: 6
; ScratchSize: 0
; MemoryBound: 0
; FloatMode: 240
; IeeeMode: 1
; LDSByteSize: 3072 bytes/workgroup (compile time only)
; SGPRBlocks: 1
; VGPRBlocks: 0
; NumSGPRsForWavesPerEU: 11
; NumVGPRsForWavesPerEU: 6
; AccumOffset: 8
; Occupancy: 8
; WaveLimiterHint : 1
; COMPUTE_PGM_RSRC2:SCRATCH_EN: 0
; COMPUTE_PGM_RSRC2:USER_SGPR: 6
; COMPUTE_PGM_RSRC2:TRAP_HANDLER: 0
; COMPUTE_PGM_RSRC2:TGID_X_EN: 1
; COMPUTE_PGM_RSRC2:TGID_Y_EN: 0
; COMPUTE_PGM_RSRC2:TGID_Z_EN: 0
; COMPUTE_PGM_RSRC2:TIDIG_COMP_CNT: 0
; COMPUTE_PGM_RSRC3_GFX90A:ACCUM_OFFSET: 1
; COMPUTE_PGM_RSRC3_GFX90A:TG_SPLIT: 0
	.section	.text._Z6kernelI18blocked_to_stripediLj256ELj4ELj100EEvPKT0_PKjPS1_,"axG",@progbits,_Z6kernelI18blocked_to_stripediLj256ELj4ELj100EEvPKT0_PKjPS1_,comdat
	.protected	_Z6kernelI18blocked_to_stripediLj256ELj4ELj100EEvPKT0_PKjPS1_ ; -- Begin function _Z6kernelI18blocked_to_stripediLj256ELj4ELj100EEvPKT0_PKjPS1_
	.globl	_Z6kernelI18blocked_to_stripediLj256ELj4ELj100EEvPKT0_PKjPS1_
	.p2align	8
	.type	_Z6kernelI18blocked_to_stripediLj256ELj4ELj100EEvPKT0_PKjPS1_,@function
_Z6kernelI18blocked_to_stripediLj256ELj4ELj100EEvPKT0_PKjPS1_: ; @_Z6kernelI18blocked_to_stripediLj256ELj4ELj100EEvPKT0_PKjPS1_
; %bb.0:
	s_load_dwordx2 s[2:3], s[4:5], 0x0
	s_lshl_b32 s0, s6, 10
	s_mov_b32 s1, 0
	s_lshl_b64 s[0:1], s[0:1], 2
	v_lshlrev_b32_e32 v1, 4, v0
	s_waitcnt lgkmcnt(0)
	s_add_u32 s2, s2, s0
	s_addc_u32 s3, s3, s1
	global_load_dwordx4 v[2:5], v1, s[2:3]
	v_lshrrev_b32_e32 v6, 1, v0
	v_and_b32_e32 v6, 0x7c, v6
	v_or_b32_e32 v7, 0x100, v0
	v_or_b32_e32 v8, 0x200, v0
	;; [unrolled: 1-line block ×3, first 2 shown]
	v_add_u32_e32 v1, v6, v1
	v_lshrrev_b32_e32 v6, 5, v0
	v_lshrrev_b32_e32 v7, 5, v7
	;; [unrolled: 1-line block ×4, first 2 shown]
	v_add_lshl_u32 v6, v6, v0, 2
	v_add_lshl_u32 v7, v7, v0, 2
	;; [unrolled: 1-line block ×4, first 2 shown]
	s_movk_i32 s2, 0x64
.LBB3_1:                                ; =>This Inner Loop Header: Depth=1
	s_waitcnt vmcnt(0)
	ds_write2_b32 v1, v2, v3 offset1:1
	ds_write2_b32 v1, v4, v5 offset0:2 offset1:3
	s_waitcnt lgkmcnt(0)
	s_barrier
	ds_read_b32 v2, v6
	ds_read_b32 v3, v7 offset:1024
	ds_read_b32 v4, v8 offset:2048
	;; [unrolled: 1-line block ×3, first 2 shown]
	s_add_i32 s2, s2, -1
	s_cmp_lg_u32 s2, 0
	s_waitcnt lgkmcnt(0)
	s_barrier
	s_cbranch_scc1 .LBB3_1
; %bb.2:
	s_load_dwordx2 s[2:3], s[4:5], 0x10
	v_lshlrev_b32_e32 v0, 2, v0
	s_waitcnt lgkmcnt(0)
	s_add_u32 s0, s2, s0
	s_addc_u32 s1, s3, s1
	global_store_dword v0, v2, s[0:1]
	global_store_dword v0, v3, s[0:1] offset:1024
	global_store_dword v0, v4, s[0:1] offset:2048
	;; [unrolled: 1-line block ×3, first 2 shown]
	s_endpgm
	.section	.rodata,"a",@progbits
	.p2align	6, 0x0
	.amdhsa_kernel _Z6kernelI18blocked_to_stripediLj256ELj4ELj100EEvPKT0_PKjPS1_
		.amdhsa_group_segment_fixed_size 4224
		.amdhsa_private_segment_fixed_size 0
		.amdhsa_kernarg_size 24
		.amdhsa_user_sgpr_count 6
		.amdhsa_user_sgpr_private_segment_buffer 1
		.amdhsa_user_sgpr_dispatch_ptr 0
		.amdhsa_user_sgpr_queue_ptr 0
		.amdhsa_user_sgpr_kernarg_segment_ptr 1
		.amdhsa_user_sgpr_dispatch_id 0
		.amdhsa_user_sgpr_flat_scratch_init 0
		.amdhsa_user_sgpr_kernarg_preload_length 0
		.amdhsa_user_sgpr_kernarg_preload_offset 0
		.amdhsa_user_sgpr_private_segment_size 0
		.amdhsa_uses_dynamic_stack 0
		.amdhsa_system_sgpr_private_segment_wavefront_offset 0
		.amdhsa_system_sgpr_workgroup_id_x 1
		.amdhsa_system_sgpr_workgroup_id_y 0
		.amdhsa_system_sgpr_workgroup_id_z 0
		.amdhsa_system_sgpr_workgroup_info 0
		.amdhsa_system_vgpr_workitem_id 0
		.amdhsa_next_free_vgpr 10
		.amdhsa_next_free_sgpr 7
		.amdhsa_accum_offset 12
		.amdhsa_reserve_vcc 0
		.amdhsa_reserve_flat_scratch 0
		.amdhsa_float_round_mode_32 0
		.amdhsa_float_round_mode_16_64 0
		.amdhsa_float_denorm_mode_32 3
		.amdhsa_float_denorm_mode_16_64 3
		.amdhsa_dx10_clamp 1
		.amdhsa_ieee_mode 1
		.amdhsa_fp16_overflow 0
		.amdhsa_tg_split 0
		.amdhsa_exception_fp_ieee_invalid_op 0
		.amdhsa_exception_fp_denorm_src 0
		.amdhsa_exception_fp_ieee_div_zero 0
		.amdhsa_exception_fp_ieee_overflow 0
		.amdhsa_exception_fp_ieee_underflow 0
		.amdhsa_exception_fp_ieee_inexact 0
		.amdhsa_exception_int_div_zero 0
	.end_amdhsa_kernel
	.section	.text._Z6kernelI18blocked_to_stripediLj256ELj4ELj100EEvPKT0_PKjPS1_,"axG",@progbits,_Z6kernelI18blocked_to_stripediLj256ELj4ELj100EEvPKT0_PKjPS1_,comdat
.Lfunc_end3:
	.size	_Z6kernelI18blocked_to_stripediLj256ELj4ELj100EEvPKT0_PKjPS1_, .Lfunc_end3-_Z6kernelI18blocked_to_stripediLj256ELj4ELj100EEvPKT0_PKjPS1_
                                        ; -- End function
	.section	.AMDGPU.csdata,"",@progbits
; Kernel info:
; codeLenInByte = 276
; NumSgprs: 11
; NumVgprs: 10
; NumAgprs: 0
; TotalNumVgprs: 10
; ScratchSize: 0
; MemoryBound: 0
; FloatMode: 240
; IeeeMode: 1
; LDSByteSize: 4224 bytes/workgroup (compile time only)
; SGPRBlocks: 1
; VGPRBlocks: 1
; NumSGPRsForWavesPerEU: 11
; NumVGPRsForWavesPerEU: 10
; AccumOffset: 12
; Occupancy: 8
; WaveLimiterHint : 1
; COMPUTE_PGM_RSRC2:SCRATCH_EN: 0
; COMPUTE_PGM_RSRC2:USER_SGPR: 6
; COMPUTE_PGM_RSRC2:TRAP_HANDLER: 0
; COMPUTE_PGM_RSRC2:TGID_X_EN: 1
; COMPUTE_PGM_RSRC2:TGID_Y_EN: 0
; COMPUTE_PGM_RSRC2:TGID_Z_EN: 0
; COMPUTE_PGM_RSRC2:TIDIG_COMP_CNT: 0
; COMPUTE_PGM_RSRC3_GFX90A:ACCUM_OFFSET: 2
; COMPUTE_PGM_RSRC3_GFX90A:TG_SPLIT: 0
	.section	.text._Z6kernelI18blocked_to_stripediLj256ELj7ELj100EEvPKT0_PKjPS1_,"axG",@progbits,_Z6kernelI18blocked_to_stripediLj256ELj7ELj100EEvPKT0_PKjPS1_,comdat
	.protected	_Z6kernelI18blocked_to_stripediLj256ELj7ELj100EEvPKT0_PKjPS1_ ; -- Begin function _Z6kernelI18blocked_to_stripediLj256ELj7ELj100EEvPKT0_PKjPS1_
	.globl	_Z6kernelI18blocked_to_stripediLj256ELj7ELj100EEvPKT0_PKjPS1_
	.p2align	8
	.type	_Z6kernelI18blocked_to_stripediLj256ELj7ELj100EEvPKT0_PKjPS1_,@function
_Z6kernelI18blocked_to_stripediLj256ELj7ELj100EEvPKT0_PKjPS1_: ; @_Z6kernelI18blocked_to_stripediLj256ELj7ELj100EEvPKT0_PKjPS1_
; %bb.0:
	s_load_dwordx2 s[2:3], s[4:5], 0x0
	s_mul_i32 s0, s6, 0x700
	s_mov_b32 s1, 0
	s_lshl_b64 s[0:1], s[0:1], 2
	v_mul_u32_u24_e32 v1, 7, v0
	s_waitcnt lgkmcnt(0)
	s_add_u32 s2, s2, s0
	s_addc_u32 s3, s3, s1
	v_lshlrev_b32_e32 v1, 2, v1
	global_load_dwordx3 v[6:8], v1, s[2:3] offset:16
	global_load_dwordx4 v[2:5], v1, s[2:3]
	v_mul_i32_i24_e32 v9, 0xffffffe8, v0
	s_movk_i32 s2, 0x64
	v_add_u32_e32 v9, v1, v9
.LBB4_1:                                ; =>This Inner Loop Header: Depth=1
	s_waitcnt vmcnt(0)
	ds_write2_b32 v1, v2, v3 offset1:1
	ds_write2_b32 v1, v4, v5 offset0:2 offset1:3
	ds_write2_b32 v1, v6, v7 offset0:4 offset1:5
	ds_write_b32 v1, v8 offset:24
	s_waitcnt lgkmcnt(0)
	s_barrier
	ds_read2st64_b32 v[2:3], v9 offset1:4
	ds_read2st64_b32 v[4:5], v9 offset0:8 offset1:12
	ds_read2st64_b32 v[6:7], v9 offset0:16 offset1:20
	ds_read_b32 v8, v9 offset:6144
	s_add_i32 s2, s2, -1
	s_cmp_lg_u32 s2, 0
	s_waitcnt lgkmcnt(0)
	s_barrier
	s_cbranch_scc1 .LBB4_1
; %bb.2:
	s_load_dwordx2 s[2:3], s[4:5], 0x10
	v_lshlrev_b32_e32 v0, 2, v0
	s_waitcnt lgkmcnt(0)
	s_add_u32 s0, s2, s0
	s_addc_u32 s1, s3, s1
	v_mov_b32_e32 v1, s1
	v_add_co_u32_e32 v9, vcc, s0, v0
	v_addc_co_u32_e32 v1, vcc, 0, v1, vcc
	global_store_dword v0, v2, s[0:1]
	global_store_dword v0, v3, s[0:1] offset:1024
	global_store_dword v0, v4, s[0:1] offset:2048
	;; [unrolled: 1-line block ×3, first 2 shown]
	v_add_co_u32_e32 v0, vcc, 0x1000, v9
	v_addc_co_u32_e32 v1, vcc, 0, v1, vcc
	global_store_dword v[0:1], v6, off
	global_store_dword v[0:1], v7, off offset:1024
	global_store_dword v[0:1], v8, off offset:2048
	s_endpgm
	.section	.rodata,"a",@progbits
	.p2align	6, 0x0
	.amdhsa_kernel _Z6kernelI18blocked_to_stripediLj256ELj7ELj100EEvPKT0_PKjPS1_
		.amdhsa_group_segment_fixed_size 7168
		.amdhsa_private_segment_fixed_size 0
		.amdhsa_kernarg_size 24
		.amdhsa_user_sgpr_count 6
		.amdhsa_user_sgpr_private_segment_buffer 1
		.amdhsa_user_sgpr_dispatch_ptr 0
		.amdhsa_user_sgpr_queue_ptr 0
		.amdhsa_user_sgpr_kernarg_segment_ptr 1
		.amdhsa_user_sgpr_dispatch_id 0
		.amdhsa_user_sgpr_flat_scratch_init 0
		.amdhsa_user_sgpr_kernarg_preload_length 0
		.amdhsa_user_sgpr_kernarg_preload_offset 0
		.amdhsa_user_sgpr_private_segment_size 0
		.amdhsa_uses_dynamic_stack 0
		.amdhsa_system_sgpr_private_segment_wavefront_offset 0
		.amdhsa_system_sgpr_workgroup_id_x 1
		.amdhsa_system_sgpr_workgroup_id_y 0
		.amdhsa_system_sgpr_workgroup_id_z 0
		.amdhsa_system_sgpr_workgroup_info 0
		.amdhsa_system_vgpr_workitem_id 0
		.amdhsa_next_free_vgpr 10
		.amdhsa_next_free_sgpr 7
		.amdhsa_accum_offset 12
		.amdhsa_reserve_vcc 1
		.amdhsa_reserve_flat_scratch 0
		.amdhsa_float_round_mode_32 0
		.amdhsa_float_round_mode_16_64 0
		.amdhsa_float_denorm_mode_32 3
		.amdhsa_float_denorm_mode_16_64 3
		.amdhsa_dx10_clamp 1
		.amdhsa_ieee_mode 1
		.amdhsa_fp16_overflow 0
		.amdhsa_tg_split 0
		.amdhsa_exception_fp_ieee_invalid_op 0
		.amdhsa_exception_fp_denorm_src 0
		.amdhsa_exception_fp_ieee_div_zero 0
		.amdhsa_exception_fp_ieee_overflow 0
		.amdhsa_exception_fp_ieee_underflow 0
		.amdhsa_exception_fp_ieee_inexact 0
		.amdhsa_exception_int_div_zero 0
	.end_amdhsa_kernel
	.section	.text._Z6kernelI18blocked_to_stripediLj256ELj7ELj100EEvPKT0_PKjPS1_,"axG",@progbits,_Z6kernelI18blocked_to_stripediLj256ELj7ELj100EEvPKT0_PKjPS1_,comdat
.Lfunc_end4:
	.size	_Z6kernelI18blocked_to_stripediLj256ELj7ELj100EEvPKT0_PKjPS1_, .Lfunc_end4-_Z6kernelI18blocked_to_stripediLj256ELj7ELj100EEvPKT0_PKjPS1_
                                        ; -- End function
	.section	.AMDGPU.csdata,"",@progbits
; Kernel info:
; codeLenInByte = 280
; NumSgprs: 11
; NumVgprs: 10
; NumAgprs: 0
; TotalNumVgprs: 10
; ScratchSize: 0
; MemoryBound: 0
; FloatMode: 240
; IeeeMode: 1
; LDSByteSize: 7168 bytes/workgroup (compile time only)
; SGPRBlocks: 1
; VGPRBlocks: 1
; NumSGPRsForWavesPerEU: 11
; NumVGPRsForWavesPerEU: 10
; AccumOffset: 12
; Occupancy: 8
; WaveLimiterHint : 1
; COMPUTE_PGM_RSRC2:SCRATCH_EN: 0
; COMPUTE_PGM_RSRC2:USER_SGPR: 6
; COMPUTE_PGM_RSRC2:TRAP_HANDLER: 0
; COMPUTE_PGM_RSRC2:TGID_X_EN: 1
; COMPUTE_PGM_RSRC2:TGID_Y_EN: 0
; COMPUTE_PGM_RSRC2:TGID_Z_EN: 0
; COMPUTE_PGM_RSRC2:TIDIG_COMP_CNT: 0
; COMPUTE_PGM_RSRC3_GFX90A:ACCUM_OFFSET: 2
; COMPUTE_PGM_RSRC3_GFX90A:TG_SPLIT: 0
	.section	.text._Z6kernelI18blocked_to_stripediLj256ELj8ELj100EEvPKT0_PKjPS1_,"axG",@progbits,_Z6kernelI18blocked_to_stripediLj256ELj8ELj100EEvPKT0_PKjPS1_,comdat
	.protected	_Z6kernelI18blocked_to_stripediLj256ELj8ELj100EEvPKT0_PKjPS1_ ; -- Begin function _Z6kernelI18blocked_to_stripediLj256ELj8ELj100EEvPKT0_PKjPS1_
	.globl	_Z6kernelI18blocked_to_stripediLj256ELj8ELj100EEvPKT0_PKjPS1_
	.p2align	8
	.type	_Z6kernelI18blocked_to_stripediLj256ELj8ELj100EEvPKT0_PKjPS1_,@function
_Z6kernelI18blocked_to_stripediLj256ELj8ELj100EEvPKT0_PKjPS1_: ; @_Z6kernelI18blocked_to_stripediLj256ELj8ELj100EEvPKT0_PKjPS1_
; %bb.0:
	s_load_dwordx2 s[2:3], s[4:5], 0x0
	s_lshl_b32 s0, s6, 11
	s_mov_b32 s1, 0
	s_lshl_b64 s[0:1], s[0:1], 2
	v_lshlrev_b32_e32 v1, 5, v0
	s_waitcnt lgkmcnt(0)
	s_add_u32 s2, s2, s0
	s_addc_u32 s3, s3, s1
	global_load_dwordx4 v[6:9], v1, s[2:3]
	global_load_dwordx4 v[2:5], v1, s[2:3] offset:16
	v_and_b32_e32 v10, 0xfc, v0
	v_or_b32_e32 v11, 0x100, v0
	v_or_b32_e32 v12, 0x200, v0
	;; [unrolled: 1-line block ×7, first 2 shown]
	v_add_u32_e32 v1, v10, v1
	v_lshrrev_b32_e32 v10, 5, v0
	v_lshrrev_b32_e32 v11, 5, v11
	;; [unrolled: 1-line block ×8, first 2 shown]
	v_add_lshl_u32 v10, v10, v0, 2
	v_add_lshl_u32 v11, v11, v0, 2
	;; [unrolled: 1-line block ×8, first 2 shown]
	s_movk_i32 s2, 0x64
.LBB5_1:                                ; =>This Inner Loop Header: Depth=1
	s_waitcnt vmcnt(1)
	ds_write2_b32 v1, v6, v7 offset1:1
	ds_write2_b32 v1, v8, v9 offset0:2 offset1:3
	s_waitcnt vmcnt(0)
	ds_write2_b32 v1, v2, v3 offset0:4 offset1:5
	ds_write2_b32 v1, v4, v5 offset0:6 offset1:7
	s_waitcnt lgkmcnt(0)
	s_barrier
	ds_read_b32 v6, v10
	ds_read_b32 v7, v11 offset:1024
	ds_read_b32 v8, v12 offset:2048
	ds_read_b32 v9, v13 offset:3072
	ds_read_b32 v2, v14 offset:4096
	ds_read_b32 v3, v15 offset:5120
	ds_read_b32 v4, v16 offset:6144
	ds_read_b32 v5, v17 offset:7168
	s_add_i32 s2, s2, -1
	s_cmp_lg_u32 s2, 0
	s_waitcnt lgkmcnt(0)
	s_barrier
	s_cbranch_scc1 .LBB5_1
; %bb.2:
	s_load_dwordx2 s[2:3], s[4:5], 0x10
	v_lshlrev_b32_e32 v0, 2, v0
	s_waitcnt lgkmcnt(0)
	s_add_u32 s0, s2, s0
	s_addc_u32 s1, s3, s1
	v_mov_b32_e32 v1, s1
	v_add_co_u32_e32 v10, vcc, s0, v0
	v_addc_co_u32_e32 v1, vcc, 0, v1, vcc
	global_store_dword v0, v6, s[0:1]
	global_store_dword v0, v7, s[0:1] offset:1024
	global_store_dword v0, v8, s[0:1] offset:2048
	;; [unrolled: 1-line block ×3, first 2 shown]
	v_add_co_u32_e32 v0, vcc, 0x1000, v10
	v_addc_co_u32_e32 v1, vcc, 0, v1, vcc
	global_store_dword v[0:1], v2, off
	global_store_dword v[0:1], v3, off offset:1024
	global_store_dword v[0:1], v4, off offset:2048
	;; [unrolled: 1-line block ×3, first 2 shown]
	s_endpgm
	.section	.rodata,"a",@progbits
	.p2align	6, 0x0
	.amdhsa_kernel _Z6kernelI18blocked_to_stripediLj256ELj8ELj100EEvPKT0_PKjPS1_
		.amdhsa_group_segment_fixed_size 8448
		.amdhsa_private_segment_fixed_size 0
		.amdhsa_kernarg_size 24
		.amdhsa_user_sgpr_count 6
		.amdhsa_user_sgpr_private_segment_buffer 1
		.amdhsa_user_sgpr_dispatch_ptr 0
		.amdhsa_user_sgpr_queue_ptr 0
		.amdhsa_user_sgpr_kernarg_segment_ptr 1
		.amdhsa_user_sgpr_dispatch_id 0
		.amdhsa_user_sgpr_flat_scratch_init 0
		.amdhsa_user_sgpr_kernarg_preload_length 0
		.amdhsa_user_sgpr_kernarg_preload_offset 0
		.amdhsa_user_sgpr_private_segment_size 0
		.amdhsa_uses_dynamic_stack 0
		.amdhsa_system_sgpr_private_segment_wavefront_offset 0
		.amdhsa_system_sgpr_workgroup_id_x 1
		.amdhsa_system_sgpr_workgroup_id_y 0
		.amdhsa_system_sgpr_workgroup_id_z 0
		.amdhsa_system_sgpr_workgroup_info 0
		.amdhsa_system_vgpr_workitem_id 0
		.amdhsa_next_free_vgpr 18
		.amdhsa_next_free_sgpr 7
		.amdhsa_accum_offset 20
		.amdhsa_reserve_vcc 1
		.amdhsa_reserve_flat_scratch 0
		.amdhsa_float_round_mode_32 0
		.amdhsa_float_round_mode_16_64 0
		.amdhsa_float_denorm_mode_32 3
		.amdhsa_float_denorm_mode_16_64 3
		.amdhsa_dx10_clamp 1
		.amdhsa_ieee_mode 1
		.amdhsa_fp16_overflow 0
		.amdhsa_tg_split 0
		.amdhsa_exception_fp_ieee_invalid_op 0
		.amdhsa_exception_fp_denorm_src 0
		.amdhsa_exception_fp_ieee_div_zero 0
		.amdhsa_exception_fp_ieee_overflow 0
		.amdhsa_exception_fp_ieee_underflow 0
		.amdhsa_exception_fp_ieee_inexact 0
		.amdhsa_exception_int_div_zero 0
	.end_amdhsa_kernel
	.section	.text._Z6kernelI18blocked_to_stripediLj256ELj8ELj100EEvPKT0_PKjPS1_,"axG",@progbits,_Z6kernelI18blocked_to_stripediLj256ELj8ELj100EEvPKT0_PKjPS1_,comdat
.Lfunc_end5:
	.size	_Z6kernelI18blocked_to_stripediLj256ELj8ELj100EEvPKT0_PKjPS1_, .Lfunc_end5-_Z6kernelI18blocked_to_stripediLj256ELj8ELj100EEvPKT0_PKjPS1_
                                        ; -- End function
	.section	.AMDGPU.csdata,"",@progbits
; Kernel info:
; codeLenInByte = 468
; NumSgprs: 11
; NumVgprs: 18
; NumAgprs: 0
; TotalNumVgprs: 18
; ScratchSize: 0
; MemoryBound: 0
; FloatMode: 240
; IeeeMode: 1
; LDSByteSize: 8448 bytes/workgroup (compile time only)
; SGPRBlocks: 1
; VGPRBlocks: 2
; NumSGPRsForWavesPerEU: 11
; NumVGPRsForWavesPerEU: 18
; AccumOffset: 20
; Occupancy: 7
; WaveLimiterHint : 1
; COMPUTE_PGM_RSRC2:SCRATCH_EN: 0
; COMPUTE_PGM_RSRC2:USER_SGPR: 6
; COMPUTE_PGM_RSRC2:TRAP_HANDLER: 0
; COMPUTE_PGM_RSRC2:TGID_X_EN: 1
; COMPUTE_PGM_RSRC2:TGID_Y_EN: 0
; COMPUTE_PGM_RSRC2:TGID_Z_EN: 0
; COMPUTE_PGM_RSRC2:TIDIG_COMP_CNT: 0
; COMPUTE_PGM_RSRC3_GFX90A:ACCUM_OFFSET: 4
; COMPUTE_PGM_RSRC3_GFX90A:TG_SPLIT: 0
	.section	.text._Z6kernelI18blocked_to_stripedaLj256ELj1ELj100EEvPKT0_PKjPS1_,"axG",@progbits,_Z6kernelI18blocked_to_stripedaLj256ELj1ELj100EEvPKT0_PKjPS1_,comdat
	.protected	_Z6kernelI18blocked_to_stripedaLj256ELj1ELj100EEvPKT0_PKjPS1_ ; -- Begin function _Z6kernelI18blocked_to_stripedaLj256ELj1ELj100EEvPKT0_PKjPS1_
	.globl	_Z6kernelI18blocked_to_stripedaLj256ELj1ELj100EEvPKT0_PKjPS1_
	.p2align	8
	.type	_Z6kernelI18blocked_to_stripedaLj256ELj1ELj100EEvPKT0_PKjPS1_,@function
_Z6kernelI18blocked_to_stripedaLj256ELj1ELj100EEvPKT0_PKjPS1_: ; @_Z6kernelI18blocked_to_stripedaLj256ELj1ELj100EEvPKT0_PKjPS1_
; %bb.0:
	s_load_dwordx2 s[2:3], s[4:5], 0x0
	s_lshl_b32 s0, s6, 8
	s_movk_i32 s1, 0x64
	s_waitcnt lgkmcnt(0)
	s_add_u32 s2, s2, s0
	s_addc_u32 s3, s3, 0
	global_load_ubyte v1, v0, s[2:3]
.LBB6_1:                                ; =>This Inner Loop Header: Depth=1
	s_waitcnt vmcnt(0)
	ds_write_b8 v0, v1
	s_waitcnt lgkmcnt(0)
	s_barrier
	ds_read_u8 v1, v0
	s_add_i32 s1, s1, -1
	s_cmp_lg_u32 s1, 0
	s_waitcnt lgkmcnt(0)
	s_barrier
	s_cbranch_scc1 .LBB6_1
; %bb.2:
	s_load_dwordx2 s[2:3], s[4:5], 0x10
	s_waitcnt lgkmcnt(0)
	s_add_u32 s0, s2, s0
	s_addc_u32 s1, s3, 0
	v_mov_b32_e32 v3, s1
	v_add_co_u32_e32 v2, vcc, s0, v0
	v_addc_co_u32_e32 v3, vcc, 0, v3, vcc
	global_store_byte v[2:3], v1, off
	s_endpgm
	.section	.rodata,"a",@progbits
	.p2align	6, 0x0
	.amdhsa_kernel _Z6kernelI18blocked_to_stripedaLj256ELj1ELj100EEvPKT0_PKjPS1_
		.amdhsa_group_segment_fixed_size 256
		.amdhsa_private_segment_fixed_size 0
		.amdhsa_kernarg_size 24
		.amdhsa_user_sgpr_count 6
		.amdhsa_user_sgpr_private_segment_buffer 1
		.amdhsa_user_sgpr_dispatch_ptr 0
		.amdhsa_user_sgpr_queue_ptr 0
		.amdhsa_user_sgpr_kernarg_segment_ptr 1
		.amdhsa_user_sgpr_dispatch_id 0
		.amdhsa_user_sgpr_flat_scratch_init 0
		.amdhsa_user_sgpr_kernarg_preload_length 0
		.amdhsa_user_sgpr_kernarg_preload_offset 0
		.amdhsa_user_sgpr_private_segment_size 0
		.amdhsa_uses_dynamic_stack 0
		.amdhsa_system_sgpr_private_segment_wavefront_offset 0
		.amdhsa_system_sgpr_workgroup_id_x 1
		.amdhsa_system_sgpr_workgroup_id_y 0
		.amdhsa_system_sgpr_workgroup_id_z 0
		.amdhsa_system_sgpr_workgroup_info 0
		.amdhsa_system_vgpr_workitem_id 0
		.amdhsa_next_free_vgpr 4
		.amdhsa_next_free_sgpr 7
		.amdhsa_accum_offset 4
		.amdhsa_reserve_vcc 1
		.amdhsa_reserve_flat_scratch 0
		.amdhsa_float_round_mode_32 0
		.amdhsa_float_round_mode_16_64 0
		.amdhsa_float_denorm_mode_32 3
		.amdhsa_float_denorm_mode_16_64 3
		.amdhsa_dx10_clamp 1
		.amdhsa_ieee_mode 1
		.amdhsa_fp16_overflow 0
		.amdhsa_tg_split 0
		.amdhsa_exception_fp_ieee_invalid_op 0
		.amdhsa_exception_fp_denorm_src 0
		.amdhsa_exception_fp_ieee_div_zero 0
		.amdhsa_exception_fp_ieee_overflow 0
		.amdhsa_exception_fp_ieee_underflow 0
		.amdhsa_exception_fp_ieee_inexact 0
		.amdhsa_exception_int_div_zero 0
	.end_amdhsa_kernel
	.section	.text._Z6kernelI18blocked_to_stripedaLj256ELj1ELj100EEvPKT0_PKjPS1_,"axG",@progbits,_Z6kernelI18blocked_to_stripedaLj256ELj1ELj100EEvPKT0_PKjPS1_,comdat
.Lfunc_end6:
	.size	_Z6kernelI18blocked_to_stripedaLj256ELj1ELj100EEvPKT0_PKjPS1_, .Lfunc_end6-_Z6kernelI18blocked_to_stripedaLj256ELj1ELj100EEvPKT0_PKjPS1_
                                        ; -- End function
	.section	.AMDGPU.csdata,"",@progbits
; Kernel info:
; codeLenInByte = 128
; NumSgprs: 11
; NumVgprs: 4
; NumAgprs: 0
; TotalNumVgprs: 4
; ScratchSize: 0
; MemoryBound: 0
; FloatMode: 240
; IeeeMode: 1
; LDSByteSize: 256 bytes/workgroup (compile time only)
; SGPRBlocks: 1
; VGPRBlocks: 0
; NumSGPRsForWavesPerEU: 11
; NumVGPRsForWavesPerEU: 4
; AccumOffset: 4
; Occupancy: 8
; WaveLimiterHint : 0
; COMPUTE_PGM_RSRC2:SCRATCH_EN: 0
; COMPUTE_PGM_RSRC2:USER_SGPR: 6
; COMPUTE_PGM_RSRC2:TRAP_HANDLER: 0
; COMPUTE_PGM_RSRC2:TGID_X_EN: 1
; COMPUTE_PGM_RSRC2:TGID_Y_EN: 0
; COMPUTE_PGM_RSRC2:TGID_Z_EN: 0
; COMPUTE_PGM_RSRC2:TIDIG_COMP_CNT: 0
; COMPUTE_PGM_RSRC3_GFX90A:ACCUM_OFFSET: 0
; COMPUTE_PGM_RSRC3_GFX90A:TG_SPLIT: 0
	.section	.text._Z6kernelI18blocked_to_stripedaLj256ELj2ELj100EEvPKT0_PKjPS1_,"axG",@progbits,_Z6kernelI18blocked_to_stripedaLj256ELj2ELj100EEvPKT0_PKjPS1_,comdat
	.protected	_Z6kernelI18blocked_to_stripedaLj256ELj2ELj100EEvPKT0_PKjPS1_ ; -- Begin function _Z6kernelI18blocked_to_stripedaLj256ELj2ELj100EEvPKT0_PKjPS1_
	.globl	_Z6kernelI18blocked_to_stripedaLj256ELj2ELj100EEvPKT0_PKjPS1_
	.p2align	8
	.type	_Z6kernelI18blocked_to_stripedaLj256ELj2ELj100EEvPKT0_PKjPS1_,@function
_Z6kernelI18blocked_to_stripedaLj256ELj2ELj100EEvPKT0_PKjPS1_: ; @_Z6kernelI18blocked_to_stripedaLj256ELj2ELj100EEvPKT0_PKjPS1_
; %bb.0:
	s_load_dwordx2 s[2:3], s[4:5], 0x0
	s_lshl_b32 s0, s6, 9
	v_lshlrev_b32_e32 v1, 1, v0
	v_lshrrev_b32_e32 v2, 4, v0
	v_and_b32_e32 v2, 12, v2
	s_waitcnt lgkmcnt(0)
	s_add_u32 s2, s2, s0
	s_addc_u32 s3, s3, 0
	global_load_ushort v3, v1, s[2:3]
	v_or_b32_e32 v4, 0x100, v0
	v_add_u32_e32 v1, v2, v1
	v_lshrrev_b32_e32 v2, 5, v0
	v_lshrrev_b32_e32 v4, 5, v4
	v_and_b32_e32 v2, 4, v2
	v_and_b32_e32 v4, 12, v4
	v_add_u32_e32 v2, v2, v0
	v_add_u32_e32 v4, v4, v0
	s_movk_i32 s1, 0x64
.LBB7_1:                                ; =>This Inner Loop Header: Depth=1
	s_waitcnt vmcnt(0)
	ds_write_b16 v1, v3
	s_waitcnt lgkmcnt(0)
	s_barrier
	ds_read_u8 v5, v4 offset:256
	ds_read_u8 v6, v2
	s_add_i32 s1, s1, -1
	s_cmp_lg_u32 s1, 0
	s_waitcnt lgkmcnt(0)
	v_lshlrev_b16_e32 v3, 8, v5
	v_or_b32_e32 v3, v6, v3
	v_and_b32_e32 v3, 0xffff, v3
	s_barrier
	s_cbranch_scc1 .LBB7_1
; %bb.2:
	s_load_dwordx2 s[2:3], s[4:5], 0x10
	s_waitcnt lgkmcnt(0)
	s_add_u32 s0, s2, s0
	s_addc_u32 s1, s3, 0
	global_store_byte v0, v6, s[0:1]
	global_store_byte v0, v5, s[0:1] offset:256
	s_endpgm
	.section	.rodata,"a",@progbits
	.p2align	6, 0x0
	.amdhsa_kernel _Z6kernelI18blocked_to_stripedaLj256ELj2ELj100EEvPKT0_PKjPS1_
		.amdhsa_group_segment_fixed_size 528
		.amdhsa_private_segment_fixed_size 0
		.amdhsa_kernarg_size 24
		.amdhsa_user_sgpr_count 6
		.amdhsa_user_sgpr_private_segment_buffer 1
		.amdhsa_user_sgpr_dispatch_ptr 0
		.amdhsa_user_sgpr_queue_ptr 0
		.amdhsa_user_sgpr_kernarg_segment_ptr 1
		.amdhsa_user_sgpr_dispatch_id 0
		.amdhsa_user_sgpr_flat_scratch_init 0
		.amdhsa_user_sgpr_kernarg_preload_length 0
		.amdhsa_user_sgpr_kernarg_preload_offset 0
		.amdhsa_user_sgpr_private_segment_size 0
		.amdhsa_uses_dynamic_stack 0
		.amdhsa_system_sgpr_private_segment_wavefront_offset 0
		.amdhsa_system_sgpr_workgroup_id_x 1
		.amdhsa_system_sgpr_workgroup_id_y 0
		.amdhsa_system_sgpr_workgroup_id_z 0
		.amdhsa_system_sgpr_workgroup_info 0
		.amdhsa_system_vgpr_workitem_id 0
		.amdhsa_next_free_vgpr 7
		.amdhsa_next_free_sgpr 7
		.amdhsa_accum_offset 8
		.amdhsa_reserve_vcc 0
		.amdhsa_reserve_flat_scratch 0
		.amdhsa_float_round_mode_32 0
		.amdhsa_float_round_mode_16_64 0
		.amdhsa_float_denorm_mode_32 3
		.amdhsa_float_denorm_mode_16_64 3
		.amdhsa_dx10_clamp 1
		.amdhsa_ieee_mode 1
		.amdhsa_fp16_overflow 0
		.amdhsa_tg_split 0
		.amdhsa_exception_fp_ieee_invalid_op 0
		.amdhsa_exception_fp_denorm_src 0
		.amdhsa_exception_fp_ieee_div_zero 0
		.amdhsa_exception_fp_ieee_overflow 0
		.amdhsa_exception_fp_ieee_underflow 0
		.amdhsa_exception_fp_ieee_inexact 0
		.amdhsa_exception_int_div_zero 0
	.end_amdhsa_kernel
	.section	.text._Z6kernelI18blocked_to_stripedaLj256ELj2ELj100EEvPKT0_PKjPS1_,"axG",@progbits,_Z6kernelI18blocked_to_stripedaLj256ELj2ELj100EEvPKT0_PKjPS1_,comdat
.Lfunc_end7:
	.size	_Z6kernelI18blocked_to_stripedaLj256ELj2ELj100EEvPKT0_PKjPS1_, .Lfunc_end7-_Z6kernelI18blocked_to_stripedaLj256ELj2ELj100EEvPKT0_PKjPS1_
                                        ; -- End function
	.section	.AMDGPU.csdata,"",@progbits
; Kernel info:
; codeLenInByte = 196
; NumSgprs: 11
; NumVgprs: 7
; NumAgprs: 0
; TotalNumVgprs: 7
; ScratchSize: 0
; MemoryBound: 0
; FloatMode: 240
; IeeeMode: 1
; LDSByteSize: 528 bytes/workgroup (compile time only)
; SGPRBlocks: 1
; VGPRBlocks: 0
; NumSGPRsForWavesPerEU: 11
; NumVGPRsForWavesPerEU: 7
; AccumOffset: 8
; Occupancy: 8
; WaveLimiterHint : 1
; COMPUTE_PGM_RSRC2:SCRATCH_EN: 0
; COMPUTE_PGM_RSRC2:USER_SGPR: 6
; COMPUTE_PGM_RSRC2:TRAP_HANDLER: 0
; COMPUTE_PGM_RSRC2:TGID_X_EN: 1
; COMPUTE_PGM_RSRC2:TGID_Y_EN: 0
; COMPUTE_PGM_RSRC2:TGID_Z_EN: 0
; COMPUTE_PGM_RSRC2:TIDIG_COMP_CNT: 0
; COMPUTE_PGM_RSRC3_GFX90A:ACCUM_OFFSET: 1
; COMPUTE_PGM_RSRC3_GFX90A:TG_SPLIT: 0
	.section	.text._Z6kernelI18blocked_to_stripedaLj256ELj3ELj100EEvPKT0_PKjPS1_,"axG",@progbits,_Z6kernelI18blocked_to_stripedaLj256ELj3ELj100EEvPKT0_PKjPS1_,comdat
	.protected	_Z6kernelI18blocked_to_stripedaLj256ELj3ELj100EEvPKT0_PKjPS1_ ; -- Begin function _Z6kernelI18blocked_to_stripedaLj256ELj3ELj100EEvPKT0_PKjPS1_
	.globl	_Z6kernelI18blocked_to_stripedaLj256ELj3ELj100EEvPKT0_PKjPS1_
	.p2align	8
	.type	_Z6kernelI18blocked_to_stripedaLj256ELj3ELj100EEvPKT0_PKjPS1_,@function
_Z6kernelI18blocked_to_stripedaLj256ELj3ELj100EEvPKT0_PKjPS1_: ; @_Z6kernelI18blocked_to_stripedaLj256ELj3ELj100EEvPKT0_PKjPS1_
; %bb.0:
	s_load_dwordx2 s[2:3], s[4:5], 0x0
	s_mul_i32 s0, s6, 0x300
	v_mul_u32_u24_e32 v1, 3, v0
	v_mov_b32_e32 v4, 8
	s_movk_i32 s1, 0x64
	s_waitcnt lgkmcnt(0)
	s_add_u32 s2, s2, s0
	s_addc_u32 s3, s3, 0
	global_load_ushort v2, v1, s[2:3]
	global_load_ubyte v3, v1, s[2:3] offset:2
	s_waitcnt vmcnt(1)
	v_lshrrev_b32_sdwa v4, v4, v2 dst_sel:BYTE_1 dst_unused:UNUSED_PAD src0_sel:DWORD src1_sel:DWORD
	v_or_b32_sdwa v2, v2, v4 dst_sel:DWORD dst_unused:UNUSED_PAD src0_sel:BYTE_0 src1_sel:DWORD
	v_and_b32_e32 v2, 0xffff, v2
	s_waitcnt vmcnt(0)
	v_lshl_or_b32 v5, v3, 16, v2
.LBB8_1:                                ; =>This Inner Loop Header: Depth=1
	v_lshrrev_b32_e32 v2, 8, v5
	ds_write_b8 v1, v5
	ds_write_b8 v1, v2 offset:1
	ds_write_b8_d16_hi v1, v5 offset:2
	s_waitcnt lgkmcnt(0)
	s_barrier
	ds_read_u8 v2, v0 offset:256
	ds_read_u8 v4, v0
	ds_read_u8 v3, v0 offset:512
	s_add_i32 s1, s1, -1
	s_cmp_lg_u32 s1, 0
	s_waitcnt lgkmcnt(2)
	v_lshlrev_b16_e32 v5, 8, v2
	s_waitcnt lgkmcnt(1)
	v_or_b32_e32 v5, v4, v5
	s_waitcnt lgkmcnt(0)
	v_lshlrev_b32_e32 v6, 16, v3
	v_or_b32_sdwa v5, v5, v6 dst_sel:DWORD dst_unused:UNUSED_PAD src0_sel:WORD_0 src1_sel:DWORD
	s_barrier
	s_cbranch_scc1 .LBB8_1
; %bb.2:
	s_load_dwordx2 s[2:3], s[4:5], 0x10
	s_waitcnt lgkmcnt(0)
	s_add_u32 s0, s2, s0
	s_addc_u32 s1, s3, 0
	global_store_byte v0, v4, s[0:1]
	global_store_byte v0, v2, s[0:1] offset:256
	global_store_byte v0, v3, s[0:1] offset:512
	s_endpgm
	.section	.rodata,"a",@progbits
	.p2align	6, 0x0
	.amdhsa_kernel _Z6kernelI18blocked_to_stripedaLj256ELj3ELj100EEvPKT0_PKjPS1_
		.amdhsa_group_segment_fixed_size 768
		.amdhsa_private_segment_fixed_size 0
		.amdhsa_kernarg_size 24
		.amdhsa_user_sgpr_count 6
		.amdhsa_user_sgpr_private_segment_buffer 1
		.amdhsa_user_sgpr_dispatch_ptr 0
		.amdhsa_user_sgpr_queue_ptr 0
		.amdhsa_user_sgpr_kernarg_segment_ptr 1
		.amdhsa_user_sgpr_dispatch_id 0
		.amdhsa_user_sgpr_flat_scratch_init 0
		.amdhsa_user_sgpr_kernarg_preload_length 0
		.amdhsa_user_sgpr_kernarg_preload_offset 0
		.amdhsa_user_sgpr_private_segment_size 0
		.amdhsa_uses_dynamic_stack 0
		.amdhsa_system_sgpr_private_segment_wavefront_offset 0
		.amdhsa_system_sgpr_workgroup_id_x 1
		.amdhsa_system_sgpr_workgroup_id_y 0
		.amdhsa_system_sgpr_workgroup_id_z 0
		.amdhsa_system_sgpr_workgroup_info 0
		.amdhsa_system_vgpr_workitem_id 0
		.amdhsa_next_free_vgpr 7
		.amdhsa_next_free_sgpr 7
		.amdhsa_accum_offset 8
		.amdhsa_reserve_vcc 0
		.amdhsa_reserve_flat_scratch 0
		.amdhsa_float_round_mode_32 0
		.amdhsa_float_round_mode_16_64 0
		.amdhsa_float_denorm_mode_32 3
		.amdhsa_float_denorm_mode_16_64 3
		.amdhsa_dx10_clamp 1
		.amdhsa_ieee_mode 1
		.amdhsa_fp16_overflow 0
		.amdhsa_tg_split 0
		.amdhsa_exception_fp_ieee_invalid_op 0
		.amdhsa_exception_fp_denorm_src 0
		.amdhsa_exception_fp_ieee_div_zero 0
		.amdhsa_exception_fp_ieee_overflow 0
		.amdhsa_exception_fp_ieee_underflow 0
		.amdhsa_exception_fp_ieee_inexact 0
		.amdhsa_exception_int_div_zero 0
	.end_amdhsa_kernel
	.section	.text._Z6kernelI18blocked_to_stripedaLj256ELj3ELj100EEvPKT0_PKjPS1_,"axG",@progbits,_Z6kernelI18blocked_to_stripedaLj256ELj3ELj100EEvPKT0_PKjPS1_,comdat
.Lfunc_end8:
	.size	_Z6kernelI18blocked_to_stripedaLj256ELj3ELj100EEvPKT0_PKjPS1_, .Lfunc_end8-_Z6kernelI18blocked_to_stripedaLj256ELj3ELj100EEvPKT0_PKjPS1_
                                        ; -- End function
	.section	.AMDGPU.csdata,"",@progbits
; Kernel info:
; codeLenInByte = 252
; NumSgprs: 11
; NumVgprs: 7
; NumAgprs: 0
; TotalNumVgprs: 7
; ScratchSize: 0
; MemoryBound: 0
; FloatMode: 240
; IeeeMode: 1
; LDSByteSize: 768 bytes/workgroup (compile time only)
; SGPRBlocks: 1
; VGPRBlocks: 0
; NumSGPRsForWavesPerEU: 11
; NumVGPRsForWavesPerEU: 7
; AccumOffset: 8
; Occupancy: 8
; WaveLimiterHint : 1
; COMPUTE_PGM_RSRC2:SCRATCH_EN: 0
; COMPUTE_PGM_RSRC2:USER_SGPR: 6
; COMPUTE_PGM_RSRC2:TRAP_HANDLER: 0
; COMPUTE_PGM_RSRC2:TGID_X_EN: 1
; COMPUTE_PGM_RSRC2:TGID_Y_EN: 0
; COMPUTE_PGM_RSRC2:TGID_Z_EN: 0
; COMPUTE_PGM_RSRC2:TIDIG_COMP_CNT: 0
; COMPUTE_PGM_RSRC3_GFX90A:ACCUM_OFFSET: 1
; COMPUTE_PGM_RSRC3_GFX90A:TG_SPLIT: 0
	.section	.text._Z6kernelI18blocked_to_stripedaLj256ELj4ELj100EEvPKT0_PKjPS1_,"axG",@progbits,_Z6kernelI18blocked_to_stripedaLj256ELj4ELj100EEvPKT0_PKjPS1_,comdat
	.protected	_Z6kernelI18blocked_to_stripedaLj256ELj4ELj100EEvPKT0_PKjPS1_ ; -- Begin function _Z6kernelI18blocked_to_stripedaLj256ELj4ELj100EEvPKT0_PKjPS1_
	.globl	_Z6kernelI18blocked_to_stripedaLj256ELj4ELj100EEvPKT0_PKjPS1_
	.p2align	8
	.type	_Z6kernelI18blocked_to_stripedaLj256ELj4ELj100EEvPKT0_PKjPS1_,@function
_Z6kernelI18blocked_to_stripedaLj256ELj4ELj100EEvPKT0_PKjPS1_: ; @_Z6kernelI18blocked_to_stripedaLj256ELj4ELj100EEvPKT0_PKjPS1_
; %bb.0:
	s_load_dwordx2 s[2:3], s[4:5], 0x0
	s_lshl_b32 s0, s6, 10
	v_lshlrev_b32_e32 v6, 2, v0
	v_lshrrev_b32_e32 v1, 3, v0
	v_or_b32_e32 v2, 0x100, v0
	s_waitcnt lgkmcnt(0)
	s_add_u32 s2, s2, s0
	s_addc_u32 s3, s3, 0
	global_load_dword v4, v6, s[2:3]
	v_or_b32_e32 v3, 0x200, v0
	v_or_b32_e32 v5, 0x300, v0
	v_and_b32_e32 v7, 28, v1
	v_lshrrev_b32_e32 v1, 5, v0
	v_lshrrev_b32_e32 v2, 5, v2
	;; [unrolled: 1-line block ×4, first 2 shown]
	v_and_b32_e32 v1, 4, v1
	v_and_b32_e32 v2, 12, v2
	;; [unrolled: 1-line block ×4, first 2 shown]
	v_add_u32_e32 v1, v1, v0
	v_add_u32_e32 v2, v2, v0
	v_add_u32_e32 v3, v3, v0
	v_add_u32_e32 v5, v5, v0
	s_movk_i32 s1, 0x64
	v_add_u32_e32 v6, v7, v6
.LBB9_1:                                ; =>This Inner Loop Header: Depth=1
	s_waitcnt vmcnt(0)
	ds_write_b32 v6, v4
	s_waitcnt lgkmcnt(0)
	s_barrier
	ds_read_u8 v7, v2 offset:256
	ds_read_u8 v9, v1
	ds_read_u8 v8, v5 offset:768
	ds_read_u8 v10, v3 offset:512
	s_add_i32 s1, s1, -1
	s_waitcnt lgkmcnt(3)
	v_lshlrev_b16_e32 v4, 8, v7
	s_waitcnt lgkmcnt(2)
	v_or_b32_e32 v4, v9, v4
	s_waitcnt lgkmcnt(1)
	v_lshlrev_b16_e32 v11, 8, v8
	s_waitcnt lgkmcnt(0)
	v_or_b32_sdwa v11, v10, v11 dst_sel:WORD_1 dst_unused:UNUSED_PAD src0_sel:DWORD src1_sel:DWORD
	v_or_b32_sdwa v4, v4, v11 dst_sel:DWORD dst_unused:UNUSED_PAD src0_sel:WORD_0 src1_sel:DWORD
	s_cmp_lg_u32 s1, 0
	s_barrier
	s_cbranch_scc1 .LBB9_1
; %bb.2:
	s_load_dwordx2 s[2:3], s[4:5], 0x10
	s_waitcnt lgkmcnt(0)
	s_add_u32 s0, s2, s0
	s_addc_u32 s1, s3, 0
	global_store_byte v0, v9, s[0:1]
	global_store_byte v0, v7, s[0:1] offset:256
	global_store_byte v0, v10, s[0:1] offset:512
	;; [unrolled: 1-line block ×3, first 2 shown]
	s_endpgm
	.section	.rodata,"a",@progbits
	.p2align	6, 0x0
	.amdhsa_kernel _Z6kernelI18blocked_to_stripedaLj256ELj4ELj100EEvPKT0_PKjPS1_
		.amdhsa_group_segment_fixed_size 1056
		.amdhsa_private_segment_fixed_size 0
		.amdhsa_kernarg_size 24
		.amdhsa_user_sgpr_count 6
		.amdhsa_user_sgpr_private_segment_buffer 1
		.amdhsa_user_sgpr_dispatch_ptr 0
		.amdhsa_user_sgpr_queue_ptr 0
		.amdhsa_user_sgpr_kernarg_segment_ptr 1
		.amdhsa_user_sgpr_dispatch_id 0
		.amdhsa_user_sgpr_flat_scratch_init 0
		.amdhsa_user_sgpr_kernarg_preload_length 0
		.amdhsa_user_sgpr_kernarg_preload_offset 0
		.amdhsa_user_sgpr_private_segment_size 0
		.amdhsa_uses_dynamic_stack 0
		.amdhsa_system_sgpr_private_segment_wavefront_offset 0
		.amdhsa_system_sgpr_workgroup_id_x 1
		.amdhsa_system_sgpr_workgroup_id_y 0
		.amdhsa_system_sgpr_workgroup_id_z 0
		.amdhsa_system_sgpr_workgroup_info 0
		.amdhsa_system_vgpr_workitem_id 0
		.amdhsa_next_free_vgpr 12
		.amdhsa_next_free_sgpr 7
		.amdhsa_accum_offset 12
		.amdhsa_reserve_vcc 0
		.amdhsa_reserve_flat_scratch 0
		.amdhsa_float_round_mode_32 0
		.amdhsa_float_round_mode_16_64 0
		.amdhsa_float_denorm_mode_32 3
		.amdhsa_float_denorm_mode_16_64 3
		.amdhsa_dx10_clamp 1
		.amdhsa_ieee_mode 1
		.amdhsa_fp16_overflow 0
		.amdhsa_tg_split 0
		.amdhsa_exception_fp_ieee_invalid_op 0
		.amdhsa_exception_fp_denorm_src 0
		.amdhsa_exception_fp_ieee_div_zero 0
		.amdhsa_exception_fp_ieee_overflow 0
		.amdhsa_exception_fp_ieee_underflow 0
		.amdhsa_exception_fp_ieee_inexact 0
		.amdhsa_exception_int_div_zero 0
	.end_amdhsa_kernel
	.section	.text._Z6kernelI18blocked_to_stripedaLj256ELj4ELj100EEvPKT0_PKjPS1_,"axG",@progbits,_Z6kernelI18blocked_to_stripedaLj256ELj4ELj100EEvPKT0_PKjPS1_,comdat
.Lfunc_end9:
	.size	_Z6kernelI18blocked_to_stripedaLj256ELj4ELj100EEvPKT0_PKjPS1_, .Lfunc_end9-_Z6kernelI18blocked_to_stripedaLj256ELj4ELj100EEvPKT0_PKjPS1_
                                        ; -- End function
	.section	.AMDGPU.csdata,"",@progbits
; Kernel info:
; codeLenInByte = 292
; NumSgprs: 11
; NumVgprs: 12
; NumAgprs: 0
; TotalNumVgprs: 12
; ScratchSize: 0
; MemoryBound: 0
; FloatMode: 240
; IeeeMode: 1
; LDSByteSize: 1056 bytes/workgroup (compile time only)
; SGPRBlocks: 1
; VGPRBlocks: 1
; NumSGPRsForWavesPerEU: 11
; NumVGPRsForWavesPerEU: 12
; AccumOffset: 12
; Occupancy: 8
; WaveLimiterHint : 1
; COMPUTE_PGM_RSRC2:SCRATCH_EN: 0
; COMPUTE_PGM_RSRC2:USER_SGPR: 6
; COMPUTE_PGM_RSRC2:TRAP_HANDLER: 0
; COMPUTE_PGM_RSRC2:TGID_X_EN: 1
; COMPUTE_PGM_RSRC2:TGID_Y_EN: 0
; COMPUTE_PGM_RSRC2:TGID_Z_EN: 0
; COMPUTE_PGM_RSRC2:TIDIG_COMP_CNT: 0
; COMPUTE_PGM_RSRC3_GFX90A:ACCUM_OFFSET: 2
; COMPUTE_PGM_RSRC3_GFX90A:TG_SPLIT: 0
	.section	.text._Z6kernelI18blocked_to_stripedaLj256ELj7ELj100EEvPKT0_PKjPS1_,"axG",@progbits,_Z6kernelI18blocked_to_stripedaLj256ELj7ELj100EEvPKT0_PKjPS1_,comdat
	.protected	_Z6kernelI18blocked_to_stripedaLj256ELj7ELj100EEvPKT0_PKjPS1_ ; -- Begin function _Z6kernelI18blocked_to_stripedaLj256ELj7ELj100EEvPKT0_PKjPS1_
	.globl	_Z6kernelI18blocked_to_stripedaLj256ELj7ELj100EEvPKT0_PKjPS1_
	.p2align	8
	.type	_Z6kernelI18blocked_to_stripedaLj256ELj7ELj100EEvPKT0_PKjPS1_,@function
_Z6kernelI18blocked_to_stripedaLj256ELj7ELj100EEvPKT0_PKjPS1_: ; @_Z6kernelI18blocked_to_stripedaLj256ELj7ELj100EEvPKT0_PKjPS1_
; %bb.0:
	s_load_dwordx2 s[2:3], s[4:5], 0x0
	s_mul_i32 s0, s6, 0x700
	v_mul_u32_u24_e32 v1, 7, v0
	v_mov_b32_e32 v4, 8
	s_mov_b32 s1, 0x3020104
	s_waitcnt lgkmcnt(0)
	s_add_u32 s2, s2, s0
	s_addc_u32 s3, s3, 0
	global_load_ushort v3, v1, s[2:3] offset:4
	global_load_dword v5, v1, s[2:3]
	global_load_sbyte v2, v1, s[2:3] offset:6
	s_waitcnt vmcnt(2)
	v_lshrrev_b32_sdwa v4, v4, v3 dst_sel:DWORD dst_unused:UNUSED_PAD src0_sel:DWORD src1_sel:WORD_0
	s_waitcnt vmcnt(1)
	v_perm_b32 v9, v5, v5, s1
	s_movk_i32 s1, 0x64
.LBB10_1:                               ; =>This Inner Loop Header: Depth=1
	v_lshrrev_b32_e32 v5, 8, v9
	ds_write_b8 v1, v9
	ds_write_b8 v1, v5 offset:1
	ds_write_b8_d16_hi v1, v9 offset:2
	v_lshrrev_b32_e32 v5, 24, v9
	ds_write_b8 v1, v5 offset:3
	ds_write_b8 v1, v3 offset:4
	;; [unrolled: 1-line block ×3, first 2 shown]
	s_waitcnt vmcnt(0)
	ds_write_b8 v1, v2 offset:6
	s_waitcnt lgkmcnt(0)
	s_barrier
	ds_read_u8 v5, v0
	ds_read_u8 v6, v0 offset:256
	ds_read_u8 v7, v0 offset:512
	;; [unrolled: 1-line block ×6, first 2 shown]
	s_waitcnt lgkmcnt(5)
	v_lshlrev_b16_e32 v9, 8, v6
	s_waitcnt lgkmcnt(3)
	v_lshlrev_b16_e32 v10, 8, v8
	v_or_b32_e32 v9, v5, v9
	v_or_b32_sdwa v10, v7, v10 dst_sel:WORD_1 dst_unused:UNUSED_PAD src0_sel:DWORD src1_sel:DWORD
	s_add_i32 s1, s1, -1
	s_cmp_lg_u32 s1, 0
	v_or_b32_sdwa v9, v9, v10 dst_sel:DWORD dst_unused:UNUSED_PAD src0_sel:WORD_0 src1_sel:DWORD
	s_waitcnt lgkmcnt(0)
	s_barrier
	s_cbranch_scc1 .LBB10_1
; %bb.2:
	s_load_dwordx2 s[2:3], s[4:5], 0x10
	s_waitcnt lgkmcnt(0)
	s_add_u32 s0, s2, s0
	s_addc_u32 s1, s3, 0
	global_store_byte v0, v5, s[0:1]
	global_store_byte v0, v6, s[0:1] offset:256
	global_store_byte v0, v7, s[0:1] offset:512
	;; [unrolled: 1-line block ×6, first 2 shown]
	s_endpgm
	.section	.rodata,"a",@progbits
	.p2align	6, 0x0
	.amdhsa_kernel _Z6kernelI18blocked_to_stripedaLj256ELj7ELj100EEvPKT0_PKjPS1_
		.amdhsa_group_segment_fixed_size 1792
		.amdhsa_private_segment_fixed_size 0
		.amdhsa_kernarg_size 24
		.amdhsa_user_sgpr_count 6
		.amdhsa_user_sgpr_private_segment_buffer 1
		.amdhsa_user_sgpr_dispatch_ptr 0
		.amdhsa_user_sgpr_queue_ptr 0
		.amdhsa_user_sgpr_kernarg_segment_ptr 1
		.amdhsa_user_sgpr_dispatch_id 0
		.amdhsa_user_sgpr_flat_scratch_init 0
		.amdhsa_user_sgpr_kernarg_preload_length 0
		.amdhsa_user_sgpr_kernarg_preload_offset 0
		.amdhsa_user_sgpr_private_segment_size 0
		.amdhsa_uses_dynamic_stack 0
		.amdhsa_system_sgpr_private_segment_wavefront_offset 0
		.amdhsa_system_sgpr_workgroup_id_x 1
		.amdhsa_system_sgpr_workgroup_id_y 0
		.amdhsa_system_sgpr_workgroup_id_z 0
		.amdhsa_system_sgpr_workgroup_info 0
		.amdhsa_system_vgpr_workitem_id 0
		.amdhsa_next_free_vgpr 11
		.amdhsa_next_free_sgpr 7
		.amdhsa_accum_offset 12
		.amdhsa_reserve_vcc 0
		.amdhsa_reserve_flat_scratch 0
		.amdhsa_float_round_mode_32 0
		.amdhsa_float_round_mode_16_64 0
		.amdhsa_float_denorm_mode_32 3
		.amdhsa_float_denorm_mode_16_64 3
		.amdhsa_dx10_clamp 1
		.amdhsa_ieee_mode 1
		.amdhsa_fp16_overflow 0
		.amdhsa_tg_split 0
		.amdhsa_exception_fp_ieee_invalid_op 0
		.amdhsa_exception_fp_denorm_src 0
		.amdhsa_exception_fp_ieee_div_zero 0
		.amdhsa_exception_fp_ieee_overflow 0
		.amdhsa_exception_fp_ieee_underflow 0
		.amdhsa_exception_fp_ieee_inexact 0
		.amdhsa_exception_int_div_zero 0
	.end_amdhsa_kernel
	.section	.text._Z6kernelI18blocked_to_stripedaLj256ELj7ELj100EEvPKT0_PKjPS1_,"axG",@progbits,_Z6kernelI18blocked_to_stripedaLj256ELj7ELj100EEvPKT0_PKjPS1_,comdat
.Lfunc_end10:
	.size	_Z6kernelI18blocked_to_stripedaLj256ELj7ELj100EEvPKT0_PKjPS1_, .Lfunc_end10-_Z6kernelI18blocked_to_stripedaLj256ELj7ELj100EEvPKT0_PKjPS1_
                                        ; -- End function
	.section	.AMDGPU.csdata,"",@progbits
; Kernel info:
; codeLenInByte = 364
; NumSgprs: 11
; NumVgprs: 11
; NumAgprs: 0
; TotalNumVgprs: 11
; ScratchSize: 0
; MemoryBound: 0
; FloatMode: 240
; IeeeMode: 1
; LDSByteSize: 1792 bytes/workgroup (compile time only)
; SGPRBlocks: 1
; VGPRBlocks: 1
; NumSGPRsForWavesPerEU: 11
; NumVGPRsForWavesPerEU: 11
; AccumOffset: 12
; Occupancy: 8
; WaveLimiterHint : 1
; COMPUTE_PGM_RSRC2:SCRATCH_EN: 0
; COMPUTE_PGM_RSRC2:USER_SGPR: 6
; COMPUTE_PGM_RSRC2:TRAP_HANDLER: 0
; COMPUTE_PGM_RSRC2:TGID_X_EN: 1
; COMPUTE_PGM_RSRC2:TGID_Y_EN: 0
; COMPUTE_PGM_RSRC2:TGID_Z_EN: 0
; COMPUTE_PGM_RSRC2:TIDIG_COMP_CNT: 0
; COMPUTE_PGM_RSRC3_GFX90A:ACCUM_OFFSET: 2
; COMPUTE_PGM_RSRC3_GFX90A:TG_SPLIT: 0
	.section	.text._Z6kernelI18blocked_to_stripedaLj256ELj8ELj100EEvPKT0_PKjPS1_,"axG",@progbits,_Z6kernelI18blocked_to_stripedaLj256ELj8ELj100EEvPKT0_PKjPS1_,comdat
	.protected	_Z6kernelI18blocked_to_stripedaLj256ELj8ELj100EEvPKT0_PKjPS1_ ; -- Begin function _Z6kernelI18blocked_to_stripedaLj256ELj8ELj100EEvPKT0_PKjPS1_
	.globl	_Z6kernelI18blocked_to_stripedaLj256ELj8ELj100EEvPKT0_PKjPS1_
	.p2align	8
	.type	_Z6kernelI18blocked_to_stripedaLj256ELj8ELj100EEvPKT0_PKjPS1_,@function
_Z6kernelI18blocked_to_stripedaLj256ELj8ELj100EEvPKT0_PKjPS1_: ; @_Z6kernelI18blocked_to_stripedaLj256ELj8ELj100EEvPKT0_PKjPS1_
; %bb.0:
	s_load_dwordx2 s[2:3], s[4:5], 0x0
	s_lshl_b32 s0, s6, 11
	v_lshlrev_b32_e32 v11, 3, v0
	v_lshrrev_b32_e32 v1, 2, v0
	v_or_b32_e32 v4, 0x100, v0
	s_waitcnt lgkmcnt(0)
	s_add_u32 s2, s2, s0
	s_addc_u32 s3, s3, 0
	global_load_dwordx2 v[2:3], v11, s[2:3]
	v_or_b32_e32 v5, 0x200, v0
	v_or_b32_e32 v6, 0x300, v0
	v_or_b32_e32 v7, 0x400, v0
	v_or_b32_e32 v8, 0x500, v0
	v_or_b32_e32 v9, 0x600, v0
	v_or_b32_e32 v10, 0x700, v0
	v_and_b32_e32 v12, 60, v1
	v_lshrrev_b32_e32 v1, 5, v0
	v_lshrrev_b32_e32 v4, 5, v4
	;; [unrolled: 1-line block ×8, first 2 shown]
	v_and_b32_e32 v1, 4, v1
	v_and_b32_e32 v4, 12, v4
	;; [unrolled: 1-line block ×8, first 2 shown]
	v_add_u32_e32 v1, v1, v0
	v_add_u32_e32 v4, v4, v0
	;; [unrolled: 1-line block ×8, first 2 shown]
	s_movk_i32 s1, 0x64
	v_add_u32_e32 v11, v12, v11
.LBB11_1:                               ; =>This Inner Loop Header: Depth=1
	s_waitcnt vmcnt(0)
	ds_write2_b32 v11, v2, v3 offset1:1
	s_waitcnt lgkmcnt(0)
	s_barrier
	ds_read_u8 v12, v1
	ds_read_u8 v13, v4 offset:256
	ds_read_u8 v14, v5 offset:512
	;; [unrolled: 1-line block ×7, first 2 shown]
	s_waitcnt lgkmcnt(6)
	v_lshlrev_b16_e32 v2, 8, v13
	s_waitcnt lgkmcnt(4)
	v_lshlrev_b16_e32 v3, 8, v15
	v_or_b32_e32 v2, v12, v2
	v_or_b32_sdwa v3, v14, v3 dst_sel:WORD_1 dst_unused:UNUSED_PAD src0_sel:DWORD src1_sel:DWORD
	v_or_b32_sdwa v2, v2, v3 dst_sel:DWORD dst_unused:UNUSED_PAD src0_sel:WORD_0 src1_sel:DWORD
	s_waitcnt lgkmcnt(2)
	v_lshlrev_b16_e32 v3, 8, v17
	s_waitcnt lgkmcnt(0)
	v_lshlrev_b16_e32 v20, 8, v19
	v_or_b32_e32 v3, v16, v3
	v_or_b32_sdwa v20, v18, v20 dst_sel:WORD_1 dst_unused:UNUSED_PAD src0_sel:DWORD src1_sel:DWORD
	s_add_i32 s1, s1, -1
	s_cmp_lg_u32 s1, 0
	v_or_b32_sdwa v3, v3, v20 dst_sel:DWORD dst_unused:UNUSED_PAD src0_sel:WORD_0 src1_sel:DWORD
	s_barrier
	s_cbranch_scc1 .LBB11_1
; %bb.2:
	s_load_dwordx2 s[2:3], s[4:5], 0x10
	s_waitcnt lgkmcnt(0)
	s_add_u32 s0, s2, s0
	s_addc_u32 s1, s3, 0
	global_store_byte v0, v12, s[0:1]
	global_store_byte v0, v13, s[0:1] offset:256
	global_store_byte v0, v14, s[0:1] offset:512
	;; [unrolled: 1-line block ×7, first 2 shown]
	s_endpgm
	.section	.rodata,"a",@progbits
	.p2align	6, 0x0
	.amdhsa_kernel _Z6kernelI18blocked_to_stripedaLj256ELj8ELj100EEvPKT0_PKjPS1_
		.amdhsa_group_segment_fixed_size 2112
		.amdhsa_private_segment_fixed_size 0
		.amdhsa_kernarg_size 24
		.amdhsa_user_sgpr_count 6
		.amdhsa_user_sgpr_private_segment_buffer 1
		.amdhsa_user_sgpr_dispatch_ptr 0
		.amdhsa_user_sgpr_queue_ptr 0
		.amdhsa_user_sgpr_kernarg_segment_ptr 1
		.amdhsa_user_sgpr_dispatch_id 0
		.amdhsa_user_sgpr_flat_scratch_init 0
		.amdhsa_user_sgpr_kernarg_preload_length 0
		.amdhsa_user_sgpr_kernarg_preload_offset 0
		.amdhsa_user_sgpr_private_segment_size 0
		.amdhsa_uses_dynamic_stack 0
		.amdhsa_system_sgpr_private_segment_wavefront_offset 0
		.amdhsa_system_sgpr_workgroup_id_x 1
		.amdhsa_system_sgpr_workgroup_id_y 0
		.amdhsa_system_sgpr_workgroup_id_z 0
		.amdhsa_system_sgpr_workgroup_info 0
		.amdhsa_system_vgpr_workitem_id 0
		.amdhsa_next_free_vgpr 21
		.amdhsa_next_free_sgpr 7
		.amdhsa_accum_offset 24
		.amdhsa_reserve_vcc 0
		.amdhsa_reserve_flat_scratch 0
		.amdhsa_float_round_mode_32 0
		.amdhsa_float_round_mode_16_64 0
		.amdhsa_float_denorm_mode_32 3
		.amdhsa_float_denorm_mode_16_64 3
		.amdhsa_dx10_clamp 1
		.amdhsa_ieee_mode 1
		.amdhsa_fp16_overflow 0
		.amdhsa_tg_split 0
		.amdhsa_exception_fp_ieee_invalid_op 0
		.amdhsa_exception_fp_denorm_src 0
		.amdhsa_exception_fp_ieee_div_zero 0
		.amdhsa_exception_fp_ieee_overflow 0
		.amdhsa_exception_fp_ieee_underflow 0
		.amdhsa_exception_fp_ieee_inexact 0
		.amdhsa_exception_int_div_zero 0
	.end_amdhsa_kernel
	.section	.text._Z6kernelI18blocked_to_stripedaLj256ELj8ELj100EEvPKT0_PKjPS1_,"axG",@progbits,_Z6kernelI18blocked_to_stripedaLj256ELj8ELj100EEvPKT0_PKjPS1_,comdat
.Lfunc_end11:
	.size	_Z6kernelI18blocked_to_stripedaLj256ELj8ELj100EEvPKT0_PKjPS1_, .Lfunc_end11-_Z6kernelI18blocked_to_stripedaLj256ELj8ELj100EEvPKT0_PKjPS1_
                                        ; -- End function
	.section	.AMDGPU.csdata,"",@progbits
; Kernel info:
; codeLenInByte = 464
; NumSgprs: 11
; NumVgprs: 21
; NumAgprs: 0
; TotalNumVgprs: 21
; ScratchSize: 0
; MemoryBound: 0
; FloatMode: 240
; IeeeMode: 1
; LDSByteSize: 2112 bytes/workgroup (compile time only)
; SGPRBlocks: 1
; VGPRBlocks: 2
; NumSGPRsForWavesPerEU: 11
; NumVGPRsForWavesPerEU: 21
; AccumOffset: 24
; Occupancy: 8
; WaveLimiterHint : 1
; COMPUTE_PGM_RSRC2:SCRATCH_EN: 0
; COMPUTE_PGM_RSRC2:USER_SGPR: 6
; COMPUTE_PGM_RSRC2:TRAP_HANDLER: 0
; COMPUTE_PGM_RSRC2:TGID_X_EN: 1
; COMPUTE_PGM_RSRC2:TGID_Y_EN: 0
; COMPUTE_PGM_RSRC2:TGID_Z_EN: 0
; COMPUTE_PGM_RSRC2:TIDIG_COMP_CNT: 0
; COMPUTE_PGM_RSRC3_GFX90A:ACCUM_OFFSET: 5
; COMPUTE_PGM_RSRC3_GFX90A:TG_SPLIT: 0
	.section	.text._Z6kernelI18blocked_to_stripedxLj256ELj1ELj100EEvPKT0_PKjPS1_,"axG",@progbits,_Z6kernelI18blocked_to_stripedxLj256ELj1ELj100EEvPKT0_PKjPS1_,comdat
	.protected	_Z6kernelI18blocked_to_stripedxLj256ELj1ELj100EEvPKT0_PKjPS1_ ; -- Begin function _Z6kernelI18blocked_to_stripedxLj256ELj1ELj100EEvPKT0_PKjPS1_
	.globl	_Z6kernelI18blocked_to_stripedxLj256ELj1ELj100EEvPKT0_PKjPS1_
	.p2align	8
	.type	_Z6kernelI18blocked_to_stripedxLj256ELj1ELj100EEvPKT0_PKjPS1_,@function
_Z6kernelI18blocked_to_stripedxLj256ELj1ELj100EEvPKT0_PKjPS1_: ; @_Z6kernelI18blocked_to_stripedxLj256ELj1ELj100EEvPKT0_PKjPS1_
; %bb.0:
	s_load_dwordx2 s[2:3], s[4:5], 0x0
	s_lshl_b32 s0, s6, 8
	s_mov_b32 s1, 0
	s_lshl_b64 s[0:1], s[0:1], 3
	v_lshlrev_b32_e32 v1, 3, v0
	s_waitcnt lgkmcnt(0)
	s_add_u32 s2, s2, s0
	s_addc_u32 s3, s3, s1
	global_load_dwordx2 v[2:3], v1, s[2:3]
	s_movk_i32 s2, 0x64
.LBB12_1:                               ; =>This Inner Loop Header: Depth=1
	s_waitcnt vmcnt(0)
	ds_write_b64 v1, v[2:3]
	s_waitcnt lgkmcnt(0)
	s_barrier
	ds_read_b64 v[2:3], v1
	s_add_i32 s2, s2, -1
	s_cmp_lg_u32 s2, 0
	s_waitcnt lgkmcnt(0)
	s_barrier
	s_cbranch_scc1 .LBB12_1
; %bb.2:
	s_load_dwordx2 s[2:3], s[4:5], 0x10
	v_lshlrev_b32_e32 v0, 3, v0
	s_waitcnt lgkmcnt(0)
	s_add_u32 s0, s2, s0
	s_addc_u32 s1, s3, s1
	global_store_dwordx2 v0, v[2:3], s[0:1]
	s_endpgm
	.section	.rodata,"a",@progbits
	.p2align	6, 0x0
	.amdhsa_kernel _Z6kernelI18blocked_to_stripedxLj256ELj1ELj100EEvPKT0_PKjPS1_
		.amdhsa_group_segment_fixed_size 2048
		.amdhsa_private_segment_fixed_size 0
		.amdhsa_kernarg_size 24
		.amdhsa_user_sgpr_count 6
		.amdhsa_user_sgpr_private_segment_buffer 1
		.amdhsa_user_sgpr_dispatch_ptr 0
		.amdhsa_user_sgpr_queue_ptr 0
		.amdhsa_user_sgpr_kernarg_segment_ptr 1
		.amdhsa_user_sgpr_dispatch_id 0
		.amdhsa_user_sgpr_flat_scratch_init 0
		.amdhsa_user_sgpr_kernarg_preload_length 0
		.amdhsa_user_sgpr_kernarg_preload_offset 0
		.amdhsa_user_sgpr_private_segment_size 0
		.amdhsa_uses_dynamic_stack 0
		.amdhsa_system_sgpr_private_segment_wavefront_offset 0
		.amdhsa_system_sgpr_workgroup_id_x 1
		.amdhsa_system_sgpr_workgroup_id_y 0
		.amdhsa_system_sgpr_workgroup_id_z 0
		.amdhsa_system_sgpr_workgroup_info 0
		.amdhsa_system_vgpr_workitem_id 0
		.amdhsa_next_free_vgpr 4
		.amdhsa_next_free_sgpr 7
		.amdhsa_accum_offset 4
		.amdhsa_reserve_vcc 0
		.amdhsa_reserve_flat_scratch 0
		.amdhsa_float_round_mode_32 0
		.amdhsa_float_round_mode_16_64 0
		.amdhsa_float_denorm_mode_32 3
		.amdhsa_float_denorm_mode_16_64 3
		.amdhsa_dx10_clamp 1
		.amdhsa_ieee_mode 1
		.amdhsa_fp16_overflow 0
		.amdhsa_tg_split 0
		.amdhsa_exception_fp_ieee_invalid_op 0
		.amdhsa_exception_fp_denorm_src 0
		.amdhsa_exception_fp_ieee_div_zero 0
		.amdhsa_exception_fp_ieee_overflow 0
		.amdhsa_exception_fp_ieee_underflow 0
		.amdhsa_exception_fp_ieee_inexact 0
		.amdhsa_exception_int_div_zero 0
	.end_amdhsa_kernel
	.section	.text._Z6kernelI18blocked_to_stripedxLj256ELj1ELj100EEvPKT0_PKjPS1_,"axG",@progbits,_Z6kernelI18blocked_to_stripedxLj256ELj1ELj100EEvPKT0_PKjPS1_,comdat
.Lfunc_end12:
	.size	_Z6kernelI18blocked_to_stripedxLj256ELj1ELj100EEvPKT0_PKjPS1_, .Lfunc_end12-_Z6kernelI18blocked_to_stripedxLj256ELj1ELj100EEvPKT0_PKjPS1_
                                        ; -- End function
	.section	.AMDGPU.csdata,"",@progbits
; Kernel info:
; codeLenInByte = 132
; NumSgprs: 11
; NumVgprs: 4
; NumAgprs: 0
; TotalNumVgprs: 4
; ScratchSize: 0
; MemoryBound: 0
; FloatMode: 240
; IeeeMode: 1
; LDSByteSize: 2048 bytes/workgroup (compile time only)
; SGPRBlocks: 1
; VGPRBlocks: 0
; NumSGPRsForWavesPerEU: 11
; NumVGPRsForWavesPerEU: 4
; AccumOffset: 4
; Occupancy: 8
; WaveLimiterHint : 0
; COMPUTE_PGM_RSRC2:SCRATCH_EN: 0
; COMPUTE_PGM_RSRC2:USER_SGPR: 6
; COMPUTE_PGM_RSRC2:TRAP_HANDLER: 0
; COMPUTE_PGM_RSRC2:TGID_X_EN: 1
; COMPUTE_PGM_RSRC2:TGID_Y_EN: 0
; COMPUTE_PGM_RSRC2:TGID_Z_EN: 0
; COMPUTE_PGM_RSRC2:TIDIG_COMP_CNT: 0
; COMPUTE_PGM_RSRC3_GFX90A:ACCUM_OFFSET: 0
; COMPUTE_PGM_RSRC3_GFX90A:TG_SPLIT: 0
	.section	.text._Z6kernelI18blocked_to_stripedxLj256ELj2ELj100EEvPKT0_PKjPS1_,"axG",@progbits,_Z6kernelI18blocked_to_stripedxLj256ELj2ELj100EEvPKT0_PKjPS1_,comdat
	.protected	_Z6kernelI18blocked_to_stripedxLj256ELj2ELj100EEvPKT0_PKjPS1_ ; -- Begin function _Z6kernelI18blocked_to_stripedxLj256ELj2ELj100EEvPKT0_PKjPS1_
	.globl	_Z6kernelI18blocked_to_stripedxLj256ELj2ELj100EEvPKT0_PKjPS1_
	.p2align	8
	.type	_Z6kernelI18blocked_to_stripedxLj256ELj2ELj100EEvPKT0_PKjPS1_,@function
_Z6kernelI18blocked_to_stripedxLj256ELj2ELj100EEvPKT0_PKjPS1_: ; @_Z6kernelI18blocked_to_stripedxLj256ELj2ELj100EEvPKT0_PKjPS1_
; %bb.0:
	s_load_dwordx2 s[2:3], s[4:5], 0x0
	s_lshl_b32 s0, s6, 9
	s_mov_b32 s1, 0
	s_lshl_b64 s[0:1], s[0:1], 3
	v_lshlrev_b32_e32 v1, 4, v0
	s_waitcnt lgkmcnt(0)
	s_add_u32 s2, s2, s0
	s_addc_u32 s3, s3, s1
	global_load_dwordx4 v[2:5], v1, s[2:3]
	v_lshrrev_b32_e32 v6, 1, v0
	v_and_b32_e32 v6, 0x78, v6
	v_or_b32_e32 v7, 0x100, v0
	v_add_u32_e32 v1, v6, v1
	v_lshrrev_b32_e32 v6, 5, v0
	v_lshrrev_b32_e32 v7, 5, v7
	v_add_lshl_u32 v6, v6, v0, 3
	v_add_lshl_u32 v7, v7, v0, 3
	s_movk_i32 s2, 0x64
.LBB13_1:                               ; =>This Inner Loop Header: Depth=1
	s_waitcnt vmcnt(0)
	ds_write2_b64 v1, v[2:3], v[4:5] offset1:1
	s_waitcnt lgkmcnt(0)
	s_barrier
	ds_read_b64 v[2:3], v6
	ds_read_b64 v[4:5], v7 offset:2048
	s_add_i32 s2, s2, -1
	s_cmp_lg_u32 s2, 0
	s_waitcnt lgkmcnt(0)
	s_barrier
	s_cbranch_scc1 .LBB13_1
; %bb.2:
	s_load_dwordx2 s[2:3], s[4:5], 0x10
	v_lshlrev_b32_e32 v0, 3, v0
	s_waitcnt lgkmcnt(0)
	s_add_u32 s0, s2, s0
	s_addc_u32 s1, s3, s1
	global_store_dwordx2 v0, v[2:3], s[0:1]
	global_store_dwordx2 v0, v[4:5], s[0:1] offset:2048
	s_endpgm
	.section	.rodata,"a",@progbits
	.p2align	6, 0x0
	.amdhsa_kernel _Z6kernelI18blocked_to_stripedxLj256ELj2ELj100EEvPKT0_PKjPS1_
		.amdhsa_group_segment_fixed_size 4224
		.amdhsa_private_segment_fixed_size 0
		.amdhsa_kernarg_size 24
		.amdhsa_user_sgpr_count 6
		.amdhsa_user_sgpr_private_segment_buffer 1
		.amdhsa_user_sgpr_dispatch_ptr 0
		.amdhsa_user_sgpr_queue_ptr 0
		.amdhsa_user_sgpr_kernarg_segment_ptr 1
		.amdhsa_user_sgpr_dispatch_id 0
		.amdhsa_user_sgpr_flat_scratch_init 0
		.amdhsa_user_sgpr_kernarg_preload_length 0
		.amdhsa_user_sgpr_kernarg_preload_offset 0
		.amdhsa_user_sgpr_private_segment_size 0
		.amdhsa_uses_dynamic_stack 0
		.amdhsa_system_sgpr_private_segment_wavefront_offset 0
		.amdhsa_system_sgpr_workgroup_id_x 1
		.amdhsa_system_sgpr_workgroup_id_y 0
		.amdhsa_system_sgpr_workgroup_id_z 0
		.amdhsa_system_sgpr_workgroup_info 0
		.amdhsa_system_vgpr_workitem_id 0
		.amdhsa_next_free_vgpr 8
		.amdhsa_next_free_sgpr 7
		.amdhsa_accum_offset 8
		.amdhsa_reserve_vcc 0
		.amdhsa_reserve_flat_scratch 0
		.amdhsa_float_round_mode_32 0
		.amdhsa_float_round_mode_16_64 0
		.amdhsa_float_denorm_mode_32 3
		.amdhsa_float_denorm_mode_16_64 3
		.amdhsa_dx10_clamp 1
		.amdhsa_ieee_mode 1
		.amdhsa_fp16_overflow 0
		.amdhsa_tg_split 0
		.amdhsa_exception_fp_ieee_invalid_op 0
		.amdhsa_exception_fp_denorm_src 0
		.amdhsa_exception_fp_ieee_div_zero 0
		.amdhsa_exception_fp_ieee_overflow 0
		.amdhsa_exception_fp_ieee_underflow 0
		.amdhsa_exception_fp_ieee_inexact 0
		.amdhsa_exception_int_div_zero 0
	.end_amdhsa_kernel
	.section	.text._Z6kernelI18blocked_to_stripedxLj256ELj2ELj100EEvPKT0_PKjPS1_,"axG",@progbits,_Z6kernelI18blocked_to_stripedxLj256ELj2ELj100EEvPKT0_PKjPS1_,comdat
.Lfunc_end13:
	.size	_Z6kernelI18blocked_to_stripedxLj256ELj2ELj100EEvPKT0_PKjPS1_, .Lfunc_end13-_Z6kernelI18blocked_to_stripedxLj256ELj2ELj100EEvPKT0_PKjPS1_
                                        ; -- End function
	.section	.AMDGPU.csdata,"",@progbits
; Kernel info:
; codeLenInByte = 196
; NumSgprs: 11
; NumVgprs: 8
; NumAgprs: 0
; TotalNumVgprs: 8
; ScratchSize: 0
; MemoryBound: 0
; FloatMode: 240
; IeeeMode: 1
; LDSByteSize: 4224 bytes/workgroup (compile time only)
; SGPRBlocks: 1
; VGPRBlocks: 0
; NumSGPRsForWavesPerEU: 11
; NumVGPRsForWavesPerEU: 8
; AccumOffset: 8
; Occupancy: 8
; WaveLimiterHint : 1
; COMPUTE_PGM_RSRC2:SCRATCH_EN: 0
; COMPUTE_PGM_RSRC2:USER_SGPR: 6
; COMPUTE_PGM_RSRC2:TRAP_HANDLER: 0
; COMPUTE_PGM_RSRC2:TGID_X_EN: 1
; COMPUTE_PGM_RSRC2:TGID_Y_EN: 0
; COMPUTE_PGM_RSRC2:TGID_Z_EN: 0
; COMPUTE_PGM_RSRC2:TIDIG_COMP_CNT: 0
; COMPUTE_PGM_RSRC3_GFX90A:ACCUM_OFFSET: 1
; COMPUTE_PGM_RSRC3_GFX90A:TG_SPLIT: 0
	.section	.text._Z6kernelI18blocked_to_stripedxLj256ELj3ELj100EEvPKT0_PKjPS1_,"axG",@progbits,_Z6kernelI18blocked_to_stripedxLj256ELj3ELj100EEvPKT0_PKjPS1_,comdat
	.protected	_Z6kernelI18blocked_to_stripedxLj256ELj3ELj100EEvPKT0_PKjPS1_ ; -- Begin function _Z6kernelI18blocked_to_stripedxLj256ELj3ELj100EEvPKT0_PKjPS1_
	.globl	_Z6kernelI18blocked_to_stripedxLj256ELj3ELj100EEvPKT0_PKjPS1_
	.p2align	8
	.type	_Z6kernelI18blocked_to_stripedxLj256ELj3ELj100EEvPKT0_PKjPS1_,@function
_Z6kernelI18blocked_to_stripedxLj256ELj3ELj100EEvPKT0_PKjPS1_: ; @_Z6kernelI18blocked_to_stripedxLj256ELj3ELj100EEvPKT0_PKjPS1_
; %bb.0:
	s_load_dwordx2 s[2:3], s[4:5], 0x0
	s_mul_i32 s0, s6, 0x300
	s_mov_b32 s1, 0
	s_lshl_b64 s[0:1], s[0:1], 3
	v_mul_u32_u24_e32 v1, 3, v0
	s_waitcnt lgkmcnt(0)
	s_add_u32 s2, s2, s0
	s_addc_u32 s3, s3, s1
	v_lshlrev_b32_e32 v1, 3, v1
	global_load_dwordx2 v[6:7], v1, s[2:3] offset:16
	global_load_dwordx4 v[2:5], v1, s[2:3]
	v_lshlrev_b32_e32 v8, 4, v0
	v_sub_u32_e32 v8, 0, v8
	s_movk_i32 s2, 0x64
	v_add_u32_e32 v8, v1, v8
.LBB14_1:                               ; =>This Inner Loop Header: Depth=1
	s_waitcnt vmcnt(0)
	ds_write2_b64 v1, v[2:3], v[4:5] offset1:1
	ds_write_b64 v1, v[6:7] offset:16
	s_waitcnt lgkmcnt(0)
	s_barrier
	ds_read2st64_b64 v[2:5], v8 offset1:4
	ds_read_b64 v[6:7], v8 offset:4096
	s_add_i32 s2, s2, -1
	s_cmp_lg_u32 s2, 0
	s_waitcnt lgkmcnt(0)
	s_barrier
	s_cbranch_scc1 .LBB14_1
; %bb.2:
	s_load_dwordx2 s[2:3], s[4:5], 0x10
	v_lshlrev_b32_e32 v0, 3, v0
	s_waitcnt lgkmcnt(0)
	s_add_u32 s0, s2, s0
	s_addc_u32 s1, s3, s1
	v_mov_b32_e32 v1, s1
	v_add_co_u32_e32 v8, vcc, s0, v0
	v_addc_co_u32_e32 v1, vcc, 0, v1, vcc
	global_store_dwordx2 v0, v[2:3], s[0:1]
	global_store_dwordx2 v0, v[4:5], s[0:1] offset:2048
	v_add_co_u32_e32 v0, vcc, 0x1000, v8
	v_addc_co_u32_e32 v1, vcc, 0, v1, vcc
	global_store_dwordx2 v[0:1], v[6:7], off
	s_endpgm
	.section	.rodata,"a",@progbits
	.p2align	6, 0x0
	.amdhsa_kernel _Z6kernelI18blocked_to_stripedxLj256ELj3ELj100EEvPKT0_PKjPS1_
		.amdhsa_group_segment_fixed_size 6144
		.amdhsa_private_segment_fixed_size 0
		.amdhsa_kernarg_size 24
		.amdhsa_user_sgpr_count 6
		.amdhsa_user_sgpr_private_segment_buffer 1
		.amdhsa_user_sgpr_dispatch_ptr 0
		.amdhsa_user_sgpr_queue_ptr 0
		.amdhsa_user_sgpr_kernarg_segment_ptr 1
		.amdhsa_user_sgpr_dispatch_id 0
		.amdhsa_user_sgpr_flat_scratch_init 0
		.amdhsa_user_sgpr_kernarg_preload_length 0
		.amdhsa_user_sgpr_kernarg_preload_offset 0
		.amdhsa_user_sgpr_private_segment_size 0
		.amdhsa_uses_dynamic_stack 0
		.amdhsa_system_sgpr_private_segment_wavefront_offset 0
		.amdhsa_system_sgpr_workgroup_id_x 1
		.amdhsa_system_sgpr_workgroup_id_y 0
		.amdhsa_system_sgpr_workgroup_id_z 0
		.amdhsa_system_sgpr_workgroup_info 0
		.amdhsa_system_vgpr_workitem_id 0
		.amdhsa_next_free_vgpr 9
		.amdhsa_next_free_sgpr 7
		.amdhsa_accum_offset 12
		.amdhsa_reserve_vcc 1
		.amdhsa_reserve_flat_scratch 0
		.amdhsa_float_round_mode_32 0
		.amdhsa_float_round_mode_16_64 0
		.amdhsa_float_denorm_mode_32 3
		.amdhsa_float_denorm_mode_16_64 3
		.amdhsa_dx10_clamp 1
		.amdhsa_ieee_mode 1
		.amdhsa_fp16_overflow 0
		.amdhsa_tg_split 0
		.amdhsa_exception_fp_ieee_invalid_op 0
		.amdhsa_exception_fp_denorm_src 0
		.amdhsa_exception_fp_ieee_div_zero 0
		.amdhsa_exception_fp_ieee_overflow 0
		.amdhsa_exception_fp_ieee_underflow 0
		.amdhsa_exception_fp_ieee_inexact 0
		.amdhsa_exception_int_div_zero 0
	.end_amdhsa_kernel
	.section	.text._Z6kernelI18blocked_to_stripedxLj256ELj3ELj100EEvPKT0_PKjPS1_,"axG",@progbits,_Z6kernelI18blocked_to_stripedxLj256ELj3ELj100EEvPKT0_PKjPS1_,comdat
.Lfunc_end14:
	.size	_Z6kernelI18blocked_to_stripedxLj256ELj3ELj100EEvPKT0_PKjPS1_, .Lfunc_end14-_Z6kernelI18blocked_to_stripedxLj256ELj3ELj100EEvPKT0_PKjPS1_
                                        ; -- End function
	.section	.AMDGPU.csdata,"",@progbits
; Kernel info:
; codeLenInByte = 216
; NumSgprs: 11
; NumVgprs: 9
; NumAgprs: 0
; TotalNumVgprs: 9
; ScratchSize: 0
; MemoryBound: 0
; FloatMode: 240
; IeeeMode: 1
; LDSByteSize: 6144 bytes/workgroup (compile time only)
; SGPRBlocks: 1
; VGPRBlocks: 1
; NumSGPRsForWavesPerEU: 11
; NumVGPRsForWavesPerEU: 9
; AccumOffset: 12
; Occupancy: 8
; WaveLimiterHint : 1
; COMPUTE_PGM_RSRC2:SCRATCH_EN: 0
; COMPUTE_PGM_RSRC2:USER_SGPR: 6
; COMPUTE_PGM_RSRC2:TRAP_HANDLER: 0
; COMPUTE_PGM_RSRC2:TGID_X_EN: 1
; COMPUTE_PGM_RSRC2:TGID_Y_EN: 0
; COMPUTE_PGM_RSRC2:TGID_Z_EN: 0
; COMPUTE_PGM_RSRC2:TIDIG_COMP_CNT: 0
; COMPUTE_PGM_RSRC3_GFX90A:ACCUM_OFFSET: 2
; COMPUTE_PGM_RSRC3_GFX90A:TG_SPLIT: 0
	.section	.text._Z6kernelI18blocked_to_stripedxLj256ELj4ELj100EEvPKT0_PKjPS1_,"axG",@progbits,_Z6kernelI18blocked_to_stripedxLj256ELj4ELj100EEvPKT0_PKjPS1_,comdat
	.protected	_Z6kernelI18blocked_to_stripedxLj256ELj4ELj100EEvPKT0_PKjPS1_ ; -- Begin function _Z6kernelI18blocked_to_stripedxLj256ELj4ELj100EEvPKT0_PKjPS1_
	.globl	_Z6kernelI18blocked_to_stripedxLj256ELj4ELj100EEvPKT0_PKjPS1_
	.p2align	8
	.type	_Z6kernelI18blocked_to_stripedxLj256ELj4ELj100EEvPKT0_PKjPS1_,@function
_Z6kernelI18blocked_to_stripedxLj256ELj4ELj100EEvPKT0_PKjPS1_: ; @_Z6kernelI18blocked_to_stripedxLj256ELj4ELj100EEvPKT0_PKjPS1_
; %bb.0:
	s_load_dwordx2 s[2:3], s[4:5], 0x0
	s_lshl_b32 s0, s6, 10
	s_mov_b32 s1, 0
	s_lshl_b64 s[0:1], s[0:1], 3
	v_lshlrev_b32_e32 v1, 5, v0
	s_waitcnt lgkmcnt(0)
	s_add_u32 s2, s2, s0
	s_addc_u32 s3, s3, s1
	global_load_dwordx4 v[2:5], v1, s[2:3] offset:16
	global_load_dwordx4 v[6:9], v1, s[2:3]
	v_and_b32_e32 v10, 0xf8, v0
	v_or_b32_e32 v11, 0x100, v0
	v_or_b32_e32 v12, 0x200, v0
	;; [unrolled: 1-line block ×3, first 2 shown]
	v_add_u32_e32 v1, v10, v1
	v_lshrrev_b32_e32 v10, 5, v0
	v_lshrrev_b32_e32 v11, 5, v11
	;; [unrolled: 1-line block ×4, first 2 shown]
	v_add_lshl_u32 v10, v10, v0, 3
	v_add_lshl_u32 v11, v11, v0, 3
	;; [unrolled: 1-line block ×4, first 2 shown]
	s_movk_i32 s2, 0x64
.LBB15_1:                               ; =>This Inner Loop Header: Depth=1
	s_waitcnt vmcnt(0)
	ds_write2_b64 v1, v[6:7], v[8:9] offset1:1
	ds_write2_b64 v1, v[2:3], v[4:5] offset0:2 offset1:3
	s_waitcnt lgkmcnt(0)
	s_barrier
	ds_read_b64 v[6:7], v10
	ds_read_b64 v[8:9], v11 offset:2048
	ds_read_b64 v[2:3], v12 offset:4096
	;; [unrolled: 1-line block ×3, first 2 shown]
	s_add_i32 s2, s2, -1
	s_cmp_lg_u32 s2, 0
	s_waitcnt lgkmcnt(0)
	s_barrier
	s_cbranch_scc1 .LBB15_1
; %bb.2:
	s_load_dwordx2 s[2:3], s[4:5], 0x10
	v_lshlrev_b32_e32 v0, 3, v0
	s_waitcnt lgkmcnt(0)
	s_add_u32 s0, s2, s0
	s_addc_u32 s1, s3, s1
	v_mov_b32_e32 v1, s1
	v_add_co_u32_e32 v10, vcc, s0, v0
	v_addc_co_u32_e32 v1, vcc, 0, v1, vcc
	global_store_dwordx2 v0, v[6:7], s[0:1]
	global_store_dwordx2 v0, v[8:9], s[0:1] offset:2048
	v_add_co_u32_e32 v0, vcc, 0x1000, v10
	v_addc_co_u32_e32 v1, vcc, 0, v1, vcc
	global_store_dwordx2 v[0:1], v[2:3], off
	global_store_dwordx2 v[0:1], v[4:5], off offset:2048
	s_endpgm
	.section	.rodata,"a",@progbits
	.p2align	6, 0x0
	.amdhsa_kernel _Z6kernelI18blocked_to_stripedxLj256ELj4ELj100EEvPKT0_PKjPS1_
		.amdhsa_group_segment_fixed_size 8448
		.amdhsa_private_segment_fixed_size 0
		.amdhsa_kernarg_size 24
		.amdhsa_user_sgpr_count 6
		.amdhsa_user_sgpr_private_segment_buffer 1
		.amdhsa_user_sgpr_dispatch_ptr 0
		.amdhsa_user_sgpr_queue_ptr 0
		.amdhsa_user_sgpr_kernarg_segment_ptr 1
		.amdhsa_user_sgpr_dispatch_id 0
		.amdhsa_user_sgpr_flat_scratch_init 0
		.amdhsa_user_sgpr_kernarg_preload_length 0
		.amdhsa_user_sgpr_kernarg_preload_offset 0
		.amdhsa_user_sgpr_private_segment_size 0
		.amdhsa_uses_dynamic_stack 0
		.amdhsa_system_sgpr_private_segment_wavefront_offset 0
		.amdhsa_system_sgpr_workgroup_id_x 1
		.amdhsa_system_sgpr_workgroup_id_y 0
		.amdhsa_system_sgpr_workgroup_id_z 0
		.amdhsa_system_sgpr_workgroup_info 0
		.amdhsa_system_vgpr_workitem_id 0
		.amdhsa_next_free_vgpr 14
		.amdhsa_next_free_sgpr 7
		.amdhsa_accum_offset 16
		.amdhsa_reserve_vcc 1
		.amdhsa_reserve_flat_scratch 0
		.amdhsa_float_round_mode_32 0
		.amdhsa_float_round_mode_16_64 0
		.amdhsa_float_denorm_mode_32 3
		.amdhsa_float_denorm_mode_16_64 3
		.amdhsa_dx10_clamp 1
		.amdhsa_ieee_mode 1
		.amdhsa_fp16_overflow 0
		.amdhsa_tg_split 0
		.amdhsa_exception_fp_ieee_invalid_op 0
		.amdhsa_exception_fp_denorm_src 0
		.amdhsa_exception_fp_ieee_div_zero 0
		.amdhsa_exception_fp_ieee_overflow 0
		.amdhsa_exception_fp_ieee_underflow 0
		.amdhsa_exception_fp_ieee_inexact 0
		.amdhsa_exception_int_div_zero 0
	.end_amdhsa_kernel
	.section	.text._Z6kernelI18blocked_to_stripedxLj256ELj4ELj100EEvPKT0_PKjPS1_,"axG",@progbits,_Z6kernelI18blocked_to_stripedxLj256ELj4ELj100EEvPKT0_PKjPS1_,comdat
.Lfunc_end15:
	.size	_Z6kernelI18blocked_to_stripedxLj256ELj4ELj100EEvPKT0_PKjPS1_, .Lfunc_end15-_Z6kernelI18blocked_to_stripedxLj256ELj4ELj100EEvPKT0_PKjPS1_
                                        ; -- End function
	.section	.AMDGPU.csdata,"",@progbits
; Kernel info:
; codeLenInByte = 304
; NumSgprs: 11
; NumVgprs: 14
; NumAgprs: 0
; TotalNumVgprs: 14
; ScratchSize: 0
; MemoryBound: 0
; FloatMode: 240
; IeeeMode: 1
; LDSByteSize: 8448 bytes/workgroup (compile time only)
; SGPRBlocks: 1
; VGPRBlocks: 1
; NumSGPRsForWavesPerEU: 11
; NumVGPRsForWavesPerEU: 14
; AccumOffset: 16
; Occupancy: 7
; WaveLimiterHint : 1
; COMPUTE_PGM_RSRC2:SCRATCH_EN: 0
; COMPUTE_PGM_RSRC2:USER_SGPR: 6
; COMPUTE_PGM_RSRC2:TRAP_HANDLER: 0
; COMPUTE_PGM_RSRC2:TGID_X_EN: 1
; COMPUTE_PGM_RSRC2:TGID_Y_EN: 0
; COMPUTE_PGM_RSRC2:TGID_Z_EN: 0
; COMPUTE_PGM_RSRC2:TIDIG_COMP_CNT: 0
; COMPUTE_PGM_RSRC3_GFX90A:ACCUM_OFFSET: 3
; COMPUTE_PGM_RSRC3_GFX90A:TG_SPLIT: 0
	.section	.text._Z6kernelI18blocked_to_stripedxLj256ELj7ELj100EEvPKT0_PKjPS1_,"axG",@progbits,_Z6kernelI18blocked_to_stripedxLj256ELj7ELj100EEvPKT0_PKjPS1_,comdat
	.protected	_Z6kernelI18blocked_to_stripedxLj256ELj7ELj100EEvPKT0_PKjPS1_ ; -- Begin function _Z6kernelI18blocked_to_stripedxLj256ELj7ELj100EEvPKT0_PKjPS1_
	.globl	_Z6kernelI18blocked_to_stripedxLj256ELj7ELj100EEvPKT0_PKjPS1_
	.p2align	8
	.type	_Z6kernelI18blocked_to_stripedxLj256ELj7ELj100EEvPKT0_PKjPS1_,@function
_Z6kernelI18blocked_to_stripedxLj256ELj7ELj100EEvPKT0_PKjPS1_: ; @_Z6kernelI18blocked_to_stripedxLj256ELj7ELj100EEvPKT0_PKjPS1_
; %bb.0:
	s_load_dwordx2 s[2:3], s[4:5], 0x0
	s_mul_i32 s0, s6, 0x700
	s_mov_b32 s1, 0
	s_lshl_b64 s[0:1], s[0:1], 3
	v_mul_u32_u24_e32 v1, 7, v0
	s_waitcnt lgkmcnt(0)
	s_add_u32 s2, s2, s0
	s_addc_u32 s3, s3, s1
	v_lshlrev_b32_e32 v1, 3, v1
	global_load_dwordx2 v[14:15], v1, s[2:3] offset:48
	global_load_dwordx4 v[2:5], v1, s[2:3] offset:32
	global_load_dwordx4 v[6:9], v1, s[2:3] offset:16
	global_load_dwordx4 v[10:13], v1, s[2:3]
	v_mul_i32_i24_e32 v16, 0xffffffd0, v0
	s_movk_i32 s2, 0x64
	v_add_u32_e32 v16, v1, v16
.LBB16_1:                               ; =>This Inner Loop Header: Depth=1
	s_waitcnt vmcnt(0)
	ds_write2_b64 v1, v[10:11], v[12:13] offset1:1
	ds_write2_b64 v1, v[6:7], v[8:9] offset0:2 offset1:3
	ds_write2_b64 v1, v[2:3], v[4:5] offset0:4 offset1:5
	ds_write_b64 v1, v[14:15] offset:48
	s_waitcnt lgkmcnt(0)
	s_barrier
	ds_read2st64_b64 v[10:13], v16 offset1:4
	ds_read2st64_b64 v[6:9], v16 offset0:8 offset1:12
	ds_read2st64_b64 v[2:5], v16 offset0:16 offset1:20
	ds_read_b64 v[14:15], v16 offset:12288
	s_add_i32 s2, s2, -1
	s_cmp_lg_u32 s2, 0
	s_waitcnt lgkmcnt(0)
	s_barrier
	s_cbranch_scc1 .LBB16_1
; %bb.2:
	s_load_dwordx2 s[2:3], s[4:5], 0x10
	v_lshlrev_b32_e32 v0, 3, v0
	s_waitcnt lgkmcnt(0)
	s_add_u32 s0, s2, s0
	s_addc_u32 s1, s3, s1
	v_mov_b32_e32 v1, s1
	v_add_co_u32_e32 v16, vcc, s0, v0
	v_addc_co_u32_e32 v17, vcc, 0, v1, vcc
	global_store_dwordx2 v0, v[10:11], s[0:1]
	global_store_dwordx2 v0, v[12:13], s[0:1] offset:2048
	v_add_co_u32_e32 v0, vcc, 0x1000, v16
	v_addc_co_u32_e32 v1, vcc, 0, v17, vcc
	global_store_dwordx2 v[0:1], v[6:7], off
	global_store_dwordx2 v[0:1], v[8:9], off offset:2048
	v_add_co_u32_e32 v0, vcc, 0x2000, v16
	v_addc_co_u32_e32 v1, vcc, 0, v17, vcc
	global_store_dwordx2 v[0:1], v[2:3], off
	global_store_dwordx2 v[0:1], v[4:5], off offset:2048
	v_add_co_u32_e32 v0, vcc, 0x3000, v16
	v_addc_co_u32_e32 v1, vcc, 0, v17, vcc
	global_store_dwordx2 v[0:1], v[14:15], off
	s_endpgm
	.section	.rodata,"a",@progbits
	.p2align	6, 0x0
	.amdhsa_kernel _Z6kernelI18blocked_to_stripedxLj256ELj7ELj100EEvPKT0_PKjPS1_
		.amdhsa_group_segment_fixed_size 14336
		.amdhsa_private_segment_fixed_size 0
		.amdhsa_kernarg_size 24
		.amdhsa_user_sgpr_count 6
		.amdhsa_user_sgpr_private_segment_buffer 1
		.amdhsa_user_sgpr_dispatch_ptr 0
		.amdhsa_user_sgpr_queue_ptr 0
		.amdhsa_user_sgpr_kernarg_segment_ptr 1
		.amdhsa_user_sgpr_dispatch_id 0
		.amdhsa_user_sgpr_flat_scratch_init 0
		.amdhsa_user_sgpr_kernarg_preload_length 0
		.amdhsa_user_sgpr_kernarg_preload_offset 0
		.amdhsa_user_sgpr_private_segment_size 0
		.amdhsa_uses_dynamic_stack 0
		.amdhsa_system_sgpr_private_segment_wavefront_offset 0
		.amdhsa_system_sgpr_workgroup_id_x 1
		.amdhsa_system_sgpr_workgroup_id_y 0
		.amdhsa_system_sgpr_workgroup_id_z 0
		.amdhsa_system_sgpr_workgroup_info 0
		.amdhsa_system_vgpr_workitem_id 0
		.amdhsa_next_free_vgpr 18
		.amdhsa_next_free_sgpr 7
		.amdhsa_accum_offset 20
		.amdhsa_reserve_vcc 1
		.amdhsa_reserve_flat_scratch 0
		.amdhsa_float_round_mode_32 0
		.amdhsa_float_round_mode_16_64 0
		.amdhsa_float_denorm_mode_32 3
		.amdhsa_float_denorm_mode_16_64 3
		.amdhsa_dx10_clamp 1
		.amdhsa_ieee_mode 1
		.amdhsa_fp16_overflow 0
		.amdhsa_tg_split 0
		.amdhsa_exception_fp_ieee_invalid_op 0
		.amdhsa_exception_fp_denorm_src 0
		.amdhsa_exception_fp_ieee_div_zero 0
		.amdhsa_exception_fp_ieee_overflow 0
		.amdhsa_exception_fp_ieee_underflow 0
		.amdhsa_exception_fp_ieee_inexact 0
		.amdhsa_exception_int_div_zero 0
	.end_amdhsa_kernel
	.section	.text._Z6kernelI18blocked_to_stripedxLj256ELj7ELj100EEvPKT0_PKjPS1_,"axG",@progbits,_Z6kernelI18blocked_to_stripedxLj256ELj7ELj100EEvPKT0_PKjPS1_,comdat
.Lfunc_end16:
	.size	_Z6kernelI18blocked_to_stripedxLj256ELj7ELj100EEvPKT0_PKjPS1_, .Lfunc_end16-_Z6kernelI18blocked_to_stripedxLj256ELj7ELj100EEvPKT0_PKjPS1_
                                        ; -- End function
	.section	.AMDGPU.csdata,"",@progbits
; Kernel info:
; codeLenInByte = 320
; NumSgprs: 11
; NumVgprs: 18
; NumAgprs: 0
; TotalNumVgprs: 18
; ScratchSize: 0
; MemoryBound: 1
; FloatMode: 240
; IeeeMode: 1
; LDSByteSize: 14336 bytes/workgroup (compile time only)
; SGPRBlocks: 1
; VGPRBlocks: 2
; NumSGPRsForWavesPerEU: 11
; NumVGPRsForWavesPerEU: 18
; AccumOffset: 20
; Occupancy: 4
; WaveLimiterHint : 1
; COMPUTE_PGM_RSRC2:SCRATCH_EN: 0
; COMPUTE_PGM_RSRC2:USER_SGPR: 6
; COMPUTE_PGM_RSRC2:TRAP_HANDLER: 0
; COMPUTE_PGM_RSRC2:TGID_X_EN: 1
; COMPUTE_PGM_RSRC2:TGID_Y_EN: 0
; COMPUTE_PGM_RSRC2:TGID_Z_EN: 0
; COMPUTE_PGM_RSRC2:TIDIG_COMP_CNT: 0
; COMPUTE_PGM_RSRC3_GFX90A:ACCUM_OFFSET: 4
; COMPUTE_PGM_RSRC3_GFX90A:TG_SPLIT: 0
	.section	.text._Z6kernelI18blocked_to_stripedxLj256ELj8ELj100EEvPKT0_PKjPS1_,"axG",@progbits,_Z6kernelI18blocked_to_stripedxLj256ELj8ELj100EEvPKT0_PKjPS1_,comdat
	.protected	_Z6kernelI18blocked_to_stripedxLj256ELj8ELj100EEvPKT0_PKjPS1_ ; -- Begin function _Z6kernelI18blocked_to_stripedxLj256ELj8ELj100EEvPKT0_PKjPS1_
	.globl	_Z6kernelI18blocked_to_stripedxLj256ELj8ELj100EEvPKT0_PKjPS1_
	.p2align	8
	.type	_Z6kernelI18blocked_to_stripedxLj256ELj8ELj100EEvPKT0_PKjPS1_,@function
_Z6kernelI18blocked_to_stripedxLj256ELj8ELj100EEvPKT0_PKjPS1_: ; @_Z6kernelI18blocked_to_stripedxLj256ELj8ELj100EEvPKT0_PKjPS1_
; %bb.0:
	s_load_dwordx2 s[2:3], s[4:5], 0x0
	s_lshl_b32 s0, s6, 11
	s_mov_b32 s1, 0
	s_lshl_b64 s[0:1], s[0:1], 3
	v_lshlrev_b32_e32 v1, 6, v0
	s_waitcnt lgkmcnt(0)
	s_add_u32 s2, s2, s0
	s_addc_u32 s3, s3, s1
	global_load_dwordx4 v[2:5], v1, s[2:3] offset:48
	global_load_dwordx4 v[6:9], v1, s[2:3] offset:32
	;; [unrolled: 1-line block ×3, first 2 shown]
	global_load_dwordx4 v[14:17], v1, s[2:3]
	v_lshlrev_b32_e32 v18, 1, v0
	v_and_b32_e32 v18, 0x1f8, v18
	v_or_b32_e32 v19, 0x100, v0
	v_or_b32_e32 v20, 0x200, v0
	;; [unrolled: 1-line block ×7, first 2 shown]
	v_add_u32_e32 v1, v18, v1
	v_lshrrev_b32_e32 v18, 5, v0
	v_lshrrev_b32_e32 v19, 5, v19
	;; [unrolled: 1-line block ×8, first 2 shown]
	v_add_lshl_u32 v18, v18, v0, 3
	v_add_lshl_u32 v19, v19, v0, 3
	;; [unrolled: 1-line block ×8, first 2 shown]
	s_movk_i32 s2, 0x64
.LBB17_1:                               ; =>This Inner Loop Header: Depth=1
	s_waitcnt vmcnt(0)
	ds_write2_b64 v1, v[14:15], v[16:17] offset1:1
	ds_write2_b64 v1, v[10:11], v[12:13] offset0:2 offset1:3
	ds_write2_b64 v1, v[6:7], v[8:9] offset0:4 offset1:5
	;; [unrolled: 1-line block ×3, first 2 shown]
	s_waitcnt lgkmcnt(0)
	s_barrier
	ds_read_b64 v[14:15], v18
	ds_read_b64 v[16:17], v19 offset:2048
	ds_read_b64 v[10:11], v20 offset:4096
	;; [unrolled: 1-line block ×7, first 2 shown]
	s_add_i32 s2, s2, -1
	s_cmp_lg_u32 s2, 0
	s_waitcnt lgkmcnt(0)
	s_barrier
	s_cbranch_scc1 .LBB17_1
; %bb.2:
	s_load_dwordx2 s[2:3], s[4:5], 0x10
	v_lshlrev_b32_e32 v0, 3, v0
	s_waitcnt lgkmcnt(0)
	s_add_u32 s0, s2, s0
	s_addc_u32 s1, s3, s1
	v_mov_b32_e32 v1, s1
	v_add_co_u32_e32 v18, vcc, s0, v0
	v_addc_co_u32_e32 v19, vcc, 0, v1, vcc
	global_store_dwordx2 v0, v[14:15], s[0:1]
	global_store_dwordx2 v0, v[16:17], s[0:1] offset:2048
	v_add_co_u32_e32 v0, vcc, 0x1000, v18
	v_addc_co_u32_e32 v1, vcc, 0, v19, vcc
	global_store_dwordx2 v[0:1], v[10:11], off
	global_store_dwordx2 v[0:1], v[12:13], off offset:2048
	v_add_co_u32_e32 v0, vcc, 0x2000, v18
	v_addc_co_u32_e32 v1, vcc, 0, v19, vcc
	global_store_dwordx2 v[0:1], v[6:7], off
	global_store_dwordx2 v[0:1], v[8:9], off offset:2048
	;; [unrolled: 4-line block ×3, first 2 shown]
	s_endpgm
	.section	.rodata,"a",@progbits
	.p2align	6, 0x0
	.amdhsa_kernel _Z6kernelI18blocked_to_stripedxLj256ELj8ELj100EEvPKT0_PKjPS1_
		.amdhsa_group_segment_fixed_size 16896
		.amdhsa_private_segment_fixed_size 0
		.amdhsa_kernarg_size 24
		.amdhsa_user_sgpr_count 6
		.amdhsa_user_sgpr_private_segment_buffer 1
		.amdhsa_user_sgpr_dispatch_ptr 0
		.amdhsa_user_sgpr_queue_ptr 0
		.amdhsa_user_sgpr_kernarg_segment_ptr 1
		.amdhsa_user_sgpr_dispatch_id 0
		.amdhsa_user_sgpr_flat_scratch_init 0
		.amdhsa_user_sgpr_kernarg_preload_length 0
		.amdhsa_user_sgpr_kernarg_preload_offset 0
		.amdhsa_user_sgpr_private_segment_size 0
		.amdhsa_uses_dynamic_stack 0
		.amdhsa_system_sgpr_private_segment_wavefront_offset 0
		.amdhsa_system_sgpr_workgroup_id_x 1
		.amdhsa_system_sgpr_workgroup_id_y 0
		.amdhsa_system_sgpr_workgroup_id_z 0
		.amdhsa_system_sgpr_workgroup_info 0
		.amdhsa_system_vgpr_workitem_id 0
		.amdhsa_next_free_vgpr 26
		.amdhsa_next_free_sgpr 7
		.amdhsa_accum_offset 28
		.amdhsa_reserve_vcc 1
		.amdhsa_reserve_flat_scratch 0
		.amdhsa_float_round_mode_32 0
		.amdhsa_float_round_mode_16_64 0
		.amdhsa_float_denorm_mode_32 3
		.amdhsa_float_denorm_mode_16_64 3
		.amdhsa_dx10_clamp 1
		.amdhsa_ieee_mode 1
		.amdhsa_fp16_overflow 0
		.amdhsa_tg_split 0
		.amdhsa_exception_fp_ieee_invalid_op 0
		.amdhsa_exception_fp_denorm_src 0
		.amdhsa_exception_fp_ieee_div_zero 0
		.amdhsa_exception_fp_ieee_overflow 0
		.amdhsa_exception_fp_ieee_underflow 0
		.amdhsa_exception_fp_ieee_inexact 0
		.amdhsa_exception_int_div_zero 0
	.end_amdhsa_kernel
	.section	.text._Z6kernelI18blocked_to_stripedxLj256ELj8ELj100EEvPKT0_PKjPS1_,"axG",@progbits,_Z6kernelI18blocked_to_stripedxLj256ELj8ELj100EEvPKT0_PKjPS1_,comdat
.Lfunc_end17:
	.size	_Z6kernelI18blocked_to_stripedxLj256ELj8ELj100EEvPKT0_PKjPS1_, .Lfunc_end17-_Z6kernelI18blocked_to_stripedxLj256ELj8ELj100EEvPKT0_PKjPS1_
                                        ; -- End function
	.section	.AMDGPU.csdata,"",@progbits
; Kernel info:
; codeLenInByte = 508
; NumSgprs: 11
; NumVgprs: 26
; NumAgprs: 0
; TotalNumVgprs: 26
; ScratchSize: 0
; MemoryBound: 0
; FloatMode: 240
; IeeeMode: 1
; LDSByteSize: 16896 bytes/workgroup (compile time only)
; SGPRBlocks: 1
; VGPRBlocks: 3
; NumSGPRsForWavesPerEU: 11
; NumVGPRsForWavesPerEU: 26
; AccumOffset: 28
; Occupancy: 3
; WaveLimiterHint : 1
; COMPUTE_PGM_RSRC2:SCRATCH_EN: 0
; COMPUTE_PGM_RSRC2:USER_SGPR: 6
; COMPUTE_PGM_RSRC2:TRAP_HANDLER: 0
; COMPUTE_PGM_RSRC2:TGID_X_EN: 1
; COMPUTE_PGM_RSRC2:TGID_Y_EN: 0
; COMPUTE_PGM_RSRC2:TGID_Z_EN: 0
; COMPUTE_PGM_RSRC2:TIDIG_COMP_CNT: 0
; COMPUTE_PGM_RSRC3_GFX90A:ACCUM_OFFSET: 6
; COMPUTE_PGM_RSRC3_GFX90A:TG_SPLIT: 0
	.section	.text._Z6kernelI18blocked_to_stripedN15benchmark_utils11custom_typeIffEELj256ELj1ELj100EEvPKT0_PKjPS4_,"axG",@progbits,_Z6kernelI18blocked_to_stripedN15benchmark_utils11custom_typeIffEELj256ELj1ELj100EEvPKT0_PKjPS4_,comdat
	.protected	_Z6kernelI18blocked_to_stripedN15benchmark_utils11custom_typeIffEELj256ELj1ELj100EEvPKT0_PKjPS4_ ; -- Begin function _Z6kernelI18blocked_to_stripedN15benchmark_utils11custom_typeIffEELj256ELj1ELj100EEvPKT0_PKjPS4_
	.globl	_Z6kernelI18blocked_to_stripedN15benchmark_utils11custom_typeIffEELj256ELj1ELj100EEvPKT0_PKjPS4_
	.p2align	8
	.type	_Z6kernelI18blocked_to_stripedN15benchmark_utils11custom_typeIffEELj256ELj1ELj100EEvPKT0_PKjPS4_,@function
_Z6kernelI18blocked_to_stripedN15benchmark_utils11custom_typeIffEELj256ELj1ELj100EEvPKT0_PKjPS4_: ; @_Z6kernelI18blocked_to_stripedN15benchmark_utils11custom_typeIffEELj256ELj1ELj100EEvPKT0_PKjPS4_
; %bb.0:
	s_load_dwordx2 s[2:3], s[4:5], 0x0
	s_lshl_b32 s0, s6, 8
	s_mov_b32 s1, 0
	s_lshl_b64 s[0:1], s[0:1], 3
	v_lshlrev_b32_e32 v1, 3, v0
	s_waitcnt lgkmcnt(0)
	s_add_u32 s2, s2, s0
	s_addc_u32 s3, s3, s1
	global_load_dwordx2 v[2:3], v1, s[2:3]
	s_movk_i32 s2, 0x64
.LBB18_1:                               ; =>This Inner Loop Header: Depth=1
	s_waitcnt vmcnt(0)
	ds_write_b64 v1, v[2:3]
	s_waitcnt lgkmcnt(0)
	s_barrier
	ds_read_b64 v[2:3], v1
	s_add_i32 s2, s2, -1
	s_cmp_lg_u32 s2, 0
	s_waitcnt lgkmcnt(0)
	s_barrier
	s_cbranch_scc1 .LBB18_1
; %bb.2:
	s_load_dwordx2 s[2:3], s[4:5], 0x10
	v_lshlrev_b32_e32 v0, 3, v0
	s_waitcnt lgkmcnt(0)
	s_add_u32 s0, s2, s0
	s_addc_u32 s1, s3, s1
	global_store_dwordx2 v0, v[2:3], s[0:1]
	s_endpgm
	.section	.rodata,"a",@progbits
	.p2align	6, 0x0
	.amdhsa_kernel _Z6kernelI18blocked_to_stripedN15benchmark_utils11custom_typeIffEELj256ELj1ELj100EEvPKT0_PKjPS4_
		.amdhsa_group_segment_fixed_size 2048
		.amdhsa_private_segment_fixed_size 0
		.amdhsa_kernarg_size 24
		.amdhsa_user_sgpr_count 6
		.amdhsa_user_sgpr_private_segment_buffer 1
		.amdhsa_user_sgpr_dispatch_ptr 0
		.amdhsa_user_sgpr_queue_ptr 0
		.amdhsa_user_sgpr_kernarg_segment_ptr 1
		.amdhsa_user_sgpr_dispatch_id 0
		.amdhsa_user_sgpr_flat_scratch_init 0
		.amdhsa_user_sgpr_kernarg_preload_length 0
		.amdhsa_user_sgpr_kernarg_preload_offset 0
		.amdhsa_user_sgpr_private_segment_size 0
		.amdhsa_uses_dynamic_stack 0
		.amdhsa_system_sgpr_private_segment_wavefront_offset 0
		.amdhsa_system_sgpr_workgroup_id_x 1
		.amdhsa_system_sgpr_workgroup_id_y 0
		.amdhsa_system_sgpr_workgroup_id_z 0
		.amdhsa_system_sgpr_workgroup_info 0
		.amdhsa_system_vgpr_workitem_id 0
		.amdhsa_next_free_vgpr 4
		.amdhsa_next_free_sgpr 7
		.amdhsa_accum_offset 4
		.amdhsa_reserve_vcc 0
		.amdhsa_reserve_flat_scratch 0
		.amdhsa_float_round_mode_32 0
		.amdhsa_float_round_mode_16_64 0
		.amdhsa_float_denorm_mode_32 3
		.amdhsa_float_denorm_mode_16_64 3
		.amdhsa_dx10_clamp 1
		.amdhsa_ieee_mode 1
		.amdhsa_fp16_overflow 0
		.amdhsa_tg_split 0
		.amdhsa_exception_fp_ieee_invalid_op 0
		.amdhsa_exception_fp_denorm_src 0
		.amdhsa_exception_fp_ieee_div_zero 0
		.amdhsa_exception_fp_ieee_overflow 0
		.amdhsa_exception_fp_ieee_underflow 0
		.amdhsa_exception_fp_ieee_inexact 0
		.amdhsa_exception_int_div_zero 0
	.end_amdhsa_kernel
	.section	.text._Z6kernelI18blocked_to_stripedN15benchmark_utils11custom_typeIffEELj256ELj1ELj100EEvPKT0_PKjPS4_,"axG",@progbits,_Z6kernelI18blocked_to_stripedN15benchmark_utils11custom_typeIffEELj256ELj1ELj100EEvPKT0_PKjPS4_,comdat
.Lfunc_end18:
	.size	_Z6kernelI18blocked_to_stripedN15benchmark_utils11custom_typeIffEELj256ELj1ELj100EEvPKT0_PKjPS4_, .Lfunc_end18-_Z6kernelI18blocked_to_stripedN15benchmark_utils11custom_typeIffEELj256ELj1ELj100EEvPKT0_PKjPS4_
                                        ; -- End function
	.section	.AMDGPU.csdata,"",@progbits
; Kernel info:
; codeLenInByte = 132
; NumSgprs: 11
; NumVgprs: 4
; NumAgprs: 0
; TotalNumVgprs: 4
; ScratchSize: 0
; MemoryBound: 0
; FloatMode: 240
; IeeeMode: 1
; LDSByteSize: 2048 bytes/workgroup (compile time only)
; SGPRBlocks: 1
; VGPRBlocks: 0
; NumSGPRsForWavesPerEU: 11
; NumVGPRsForWavesPerEU: 4
; AccumOffset: 4
; Occupancy: 8
; WaveLimiterHint : 0
; COMPUTE_PGM_RSRC2:SCRATCH_EN: 0
; COMPUTE_PGM_RSRC2:USER_SGPR: 6
; COMPUTE_PGM_RSRC2:TRAP_HANDLER: 0
; COMPUTE_PGM_RSRC2:TGID_X_EN: 1
; COMPUTE_PGM_RSRC2:TGID_Y_EN: 0
; COMPUTE_PGM_RSRC2:TGID_Z_EN: 0
; COMPUTE_PGM_RSRC2:TIDIG_COMP_CNT: 0
; COMPUTE_PGM_RSRC3_GFX90A:ACCUM_OFFSET: 0
; COMPUTE_PGM_RSRC3_GFX90A:TG_SPLIT: 0
	.section	.text._Z6kernelI18blocked_to_stripedN15benchmark_utils11custom_typeIffEELj256ELj2ELj100EEvPKT0_PKjPS4_,"axG",@progbits,_Z6kernelI18blocked_to_stripedN15benchmark_utils11custom_typeIffEELj256ELj2ELj100EEvPKT0_PKjPS4_,comdat
	.protected	_Z6kernelI18blocked_to_stripedN15benchmark_utils11custom_typeIffEELj256ELj2ELj100EEvPKT0_PKjPS4_ ; -- Begin function _Z6kernelI18blocked_to_stripedN15benchmark_utils11custom_typeIffEELj256ELj2ELj100EEvPKT0_PKjPS4_
	.globl	_Z6kernelI18blocked_to_stripedN15benchmark_utils11custom_typeIffEELj256ELj2ELj100EEvPKT0_PKjPS4_
	.p2align	8
	.type	_Z6kernelI18blocked_to_stripedN15benchmark_utils11custom_typeIffEELj256ELj2ELj100EEvPKT0_PKjPS4_,@function
_Z6kernelI18blocked_to_stripedN15benchmark_utils11custom_typeIffEELj256ELj2ELj100EEvPKT0_PKjPS4_: ; @_Z6kernelI18blocked_to_stripedN15benchmark_utils11custom_typeIffEELj256ELj2ELj100EEvPKT0_PKjPS4_
; %bb.0:
	s_load_dwordx2 s[2:3], s[4:5], 0x0
	s_lshl_b32 s0, s6, 9
	s_mov_b32 s1, 0
	s_lshl_b64 s[0:1], s[0:1], 3
	v_lshlrev_b32_e32 v1, 4, v0
	s_waitcnt lgkmcnt(0)
	s_add_u32 s2, s2, s0
	s_addc_u32 s3, s3, s1
	global_load_dwordx4 v[2:5], v1, s[2:3]
	v_lshrrev_b32_e32 v6, 1, v0
	v_and_b32_e32 v6, 0x78, v6
	v_or_b32_e32 v7, 0x100, v0
	v_add_u32_e32 v1, v6, v1
	v_lshrrev_b32_e32 v6, 5, v0
	v_lshrrev_b32_e32 v7, 5, v7
	v_add_lshl_u32 v6, v6, v0, 3
	v_add_lshl_u32 v7, v7, v0, 3
	s_movk_i32 s2, 0x64
.LBB19_1:                               ; =>This Inner Loop Header: Depth=1
	s_waitcnt vmcnt(0)
	ds_write2_b64 v1, v[2:3], v[4:5] offset1:1
	s_waitcnt lgkmcnt(0)
	s_barrier
	ds_read_b64 v[2:3], v6
	ds_read_b64 v[4:5], v7 offset:2048
	s_add_i32 s2, s2, -1
	s_cmp_lg_u32 s2, 0
	s_waitcnt lgkmcnt(0)
	s_barrier
	s_cbranch_scc1 .LBB19_1
; %bb.2:
	s_load_dwordx2 s[2:3], s[4:5], 0x10
	v_lshlrev_b32_e32 v0, 3, v0
	s_waitcnt lgkmcnt(0)
	s_add_u32 s0, s2, s0
	s_addc_u32 s1, s3, s1
	global_store_dwordx2 v0, v[2:3], s[0:1]
	global_store_dwordx2 v0, v[4:5], s[0:1] offset:2048
	s_endpgm
	.section	.rodata,"a",@progbits
	.p2align	6, 0x0
	.amdhsa_kernel _Z6kernelI18blocked_to_stripedN15benchmark_utils11custom_typeIffEELj256ELj2ELj100EEvPKT0_PKjPS4_
		.amdhsa_group_segment_fixed_size 4224
		.amdhsa_private_segment_fixed_size 0
		.amdhsa_kernarg_size 24
		.amdhsa_user_sgpr_count 6
		.amdhsa_user_sgpr_private_segment_buffer 1
		.amdhsa_user_sgpr_dispatch_ptr 0
		.amdhsa_user_sgpr_queue_ptr 0
		.amdhsa_user_sgpr_kernarg_segment_ptr 1
		.amdhsa_user_sgpr_dispatch_id 0
		.amdhsa_user_sgpr_flat_scratch_init 0
		.amdhsa_user_sgpr_kernarg_preload_length 0
		.amdhsa_user_sgpr_kernarg_preload_offset 0
		.amdhsa_user_sgpr_private_segment_size 0
		.amdhsa_uses_dynamic_stack 0
		.amdhsa_system_sgpr_private_segment_wavefront_offset 0
		.amdhsa_system_sgpr_workgroup_id_x 1
		.amdhsa_system_sgpr_workgroup_id_y 0
		.amdhsa_system_sgpr_workgroup_id_z 0
		.amdhsa_system_sgpr_workgroup_info 0
		.amdhsa_system_vgpr_workitem_id 0
		.amdhsa_next_free_vgpr 8
		.amdhsa_next_free_sgpr 7
		.amdhsa_accum_offset 8
		.amdhsa_reserve_vcc 0
		.amdhsa_reserve_flat_scratch 0
		.amdhsa_float_round_mode_32 0
		.amdhsa_float_round_mode_16_64 0
		.amdhsa_float_denorm_mode_32 3
		.amdhsa_float_denorm_mode_16_64 3
		.amdhsa_dx10_clamp 1
		.amdhsa_ieee_mode 1
		.amdhsa_fp16_overflow 0
		.amdhsa_tg_split 0
		.amdhsa_exception_fp_ieee_invalid_op 0
		.amdhsa_exception_fp_denorm_src 0
		.amdhsa_exception_fp_ieee_div_zero 0
		.amdhsa_exception_fp_ieee_overflow 0
		.amdhsa_exception_fp_ieee_underflow 0
		.amdhsa_exception_fp_ieee_inexact 0
		.amdhsa_exception_int_div_zero 0
	.end_amdhsa_kernel
	.section	.text._Z6kernelI18blocked_to_stripedN15benchmark_utils11custom_typeIffEELj256ELj2ELj100EEvPKT0_PKjPS4_,"axG",@progbits,_Z6kernelI18blocked_to_stripedN15benchmark_utils11custom_typeIffEELj256ELj2ELj100EEvPKT0_PKjPS4_,comdat
.Lfunc_end19:
	.size	_Z6kernelI18blocked_to_stripedN15benchmark_utils11custom_typeIffEELj256ELj2ELj100EEvPKT0_PKjPS4_, .Lfunc_end19-_Z6kernelI18blocked_to_stripedN15benchmark_utils11custom_typeIffEELj256ELj2ELj100EEvPKT0_PKjPS4_
                                        ; -- End function
	.section	.AMDGPU.csdata,"",@progbits
; Kernel info:
; codeLenInByte = 196
; NumSgprs: 11
; NumVgprs: 8
; NumAgprs: 0
; TotalNumVgprs: 8
; ScratchSize: 0
; MemoryBound: 0
; FloatMode: 240
; IeeeMode: 1
; LDSByteSize: 4224 bytes/workgroup (compile time only)
; SGPRBlocks: 1
; VGPRBlocks: 0
; NumSGPRsForWavesPerEU: 11
; NumVGPRsForWavesPerEU: 8
; AccumOffset: 8
; Occupancy: 8
; WaveLimiterHint : 1
; COMPUTE_PGM_RSRC2:SCRATCH_EN: 0
; COMPUTE_PGM_RSRC2:USER_SGPR: 6
; COMPUTE_PGM_RSRC2:TRAP_HANDLER: 0
; COMPUTE_PGM_RSRC2:TGID_X_EN: 1
; COMPUTE_PGM_RSRC2:TGID_Y_EN: 0
; COMPUTE_PGM_RSRC2:TGID_Z_EN: 0
; COMPUTE_PGM_RSRC2:TIDIG_COMP_CNT: 0
; COMPUTE_PGM_RSRC3_GFX90A:ACCUM_OFFSET: 1
; COMPUTE_PGM_RSRC3_GFX90A:TG_SPLIT: 0
	.section	.text._Z6kernelI18blocked_to_stripedN15benchmark_utils11custom_typeIffEELj256ELj3ELj100EEvPKT0_PKjPS4_,"axG",@progbits,_Z6kernelI18blocked_to_stripedN15benchmark_utils11custom_typeIffEELj256ELj3ELj100EEvPKT0_PKjPS4_,comdat
	.protected	_Z6kernelI18blocked_to_stripedN15benchmark_utils11custom_typeIffEELj256ELj3ELj100EEvPKT0_PKjPS4_ ; -- Begin function _Z6kernelI18blocked_to_stripedN15benchmark_utils11custom_typeIffEELj256ELj3ELj100EEvPKT0_PKjPS4_
	.globl	_Z6kernelI18blocked_to_stripedN15benchmark_utils11custom_typeIffEELj256ELj3ELj100EEvPKT0_PKjPS4_
	.p2align	8
	.type	_Z6kernelI18blocked_to_stripedN15benchmark_utils11custom_typeIffEELj256ELj3ELj100EEvPKT0_PKjPS4_,@function
_Z6kernelI18blocked_to_stripedN15benchmark_utils11custom_typeIffEELj256ELj3ELj100EEvPKT0_PKjPS4_: ; @_Z6kernelI18blocked_to_stripedN15benchmark_utils11custom_typeIffEELj256ELj3ELj100EEvPKT0_PKjPS4_
; %bb.0:
	s_load_dwordx2 s[2:3], s[4:5], 0x0
	s_mul_i32 s0, s6, 0x300
	s_mov_b32 s1, 0
	s_lshl_b64 s[0:1], s[0:1], 3
	v_mul_u32_u24_e32 v1, 3, v0
	s_waitcnt lgkmcnt(0)
	s_add_u32 s2, s2, s0
	s_addc_u32 s3, s3, s1
	v_lshlrev_b32_e32 v1, 3, v1
	global_load_dwordx2 v[6:7], v1, s[2:3] offset:16
	global_load_dwordx4 v[2:5], v1, s[2:3]
	v_lshlrev_b32_e32 v8, 4, v0
	v_sub_u32_e32 v8, 0, v8
	s_movk_i32 s2, 0x64
	v_add_u32_e32 v8, v1, v8
.LBB20_1:                               ; =>This Inner Loop Header: Depth=1
	s_waitcnt vmcnt(0)
	ds_write2_b64 v1, v[2:3], v[4:5] offset1:1
	ds_write_b64 v1, v[6:7] offset:16
	s_waitcnt lgkmcnt(0)
	s_barrier
	ds_read2st64_b64 v[2:5], v8 offset1:4
	ds_read_b64 v[6:7], v8 offset:4096
	s_add_i32 s2, s2, -1
	s_cmp_lg_u32 s2, 0
	s_waitcnt lgkmcnt(0)
	s_barrier
	s_cbranch_scc1 .LBB20_1
; %bb.2:
	s_load_dwordx2 s[2:3], s[4:5], 0x10
	v_lshlrev_b32_e32 v0, 3, v0
	s_waitcnt lgkmcnt(0)
	s_add_u32 s0, s2, s0
	s_addc_u32 s1, s3, s1
	v_mov_b32_e32 v1, s1
	v_add_co_u32_e32 v8, vcc, s0, v0
	v_addc_co_u32_e32 v1, vcc, 0, v1, vcc
	global_store_dwordx2 v0, v[2:3], s[0:1]
	global_store_dwordx2 v0, v[4:5], s[0:1] offset:2048
	v_add_co_u32_e32 v0, vcc, 0x1000, v8
	v_addc_co_u32_e32 v1, vcc, 0, v1, vcc
	global_store_dwordx2 v[0:1], v[6:7], off
	s_endpgm
	.section	.rodata,"a",@progbits
	.p2align	6, 0x0
	.amdhsa_kernel _Z6kernelI18blocked_to_stripedN15benchmark_utils11custom_typeIffEELj256ELj3ELj100EEvPKT0_PKjPS4_
		.amdhsa_group_segment_fixed_size 6144
		.amdhsa_private_segment_fixed_size 0
		.amdhsa_kernarg_size 24
		.amdhsa_user_sgpr_count 6
		.amdhsa_user_sgpr_private_segment_buffer 1
		.amdhsa_user_sgpr_dispatch_ptr 0
		.amdhsa_user_sgpr_queue_ptr 0
		.amdhsa_user_sgpr_kernarg_segment_ptr 1
		.amdhsa_user_sgpr_dispatch_id 0
		.amdhsa_user_sgpr_flat_scratch_init 0
		.amdhsa_user_sgpr_kernarg_preload_length 0
		.amdhsa_user_sgpr_kernarg_preload_offset 0
		.amdhsa_user_sgpr_private_segment_size 0
		.amdhsa_uses_dynamic_stack 0
		.amdhsa_system_sgpr_private_segment_wavefront_offset 0
		.amdhsa_system_sgpr_workgroup_id_x 1
		.amdhsa_system_sgpr_workgroup_id_y 0
		.amdhsa_system_sgpr_workgroup_id_z 0
		.amdhsa_system_sgpr_workgroup_info 0
		.amdhsa_system_vgpr_workitem_id 0
		.amdhsa_next_free_vgpr 9
		.amdhsa_next_free_sgpr 7
		.amdhsa_accum_offset 12
		.amdhsa_reserve_vcc 1
		.amdhsa_reserve_flat_scratch 0
		.amdhsa_float_round_mode_32 0
		.amdhsa_float_round_mode_16_64 0
		.amdhsa_float_denorm_mode_32 3
		.amdhsa_float_denorm_mode_16_64 3
		.amdhsa_dx10_clamp 1
		.amdhsa_ieee_mode 1
		.amdhsa_fp16_overflow 0
		.amdhsa_tg_split 0
		.amdhsa_exception_fp_ieee_invalid_op 0
		.amdhsa_exception_fp_denorm_src 0
		.amdhsa_exception_fp_ieee_div_zero 0
		.amdhsa_exception_fp_ieee_overflow 0
		.amdhsa_exception_fp_ieee_underflow 0
		.amdhsa_exception_fp_ieee_inexact 0
		.amdhsa_exception_int_div_zero 0
	.end_amdhsa_kernel
	.section	.text._Z6kernelI18blocked_to_stripedN15benchmark_utils11custom_typeIffEELj256ELj3ELj100EEvPKT0_PKjPS4_,"axG",@progbits,_Z6kernelI18blocked_to_stripedN15benchmark_utils11custom_typeIffEELj256ELj3ELj100EEvPKT0_PKjPS4_,comdat
.Lfunc_end20:
	.size	_Z6kernelI18blocked_to_stripedN15benchmark_utils11custom_typeIffEELj256ELj3ELj100EEvPKT0_PKjPS4_, .Lfunc_end20-_Z6kernelI18blocked_to_stripedN15benchmark_utils11custom_typeIffEELj256ELj3ELj100EEvPKT0_PKjPS4_
                                        ; -- End function
	.section	.AMDGPU.csdata,"",@progbits
; Kernel info:
; codeLenInByte = 216
; NumSgprs: 11
; NumVgprs: 9
; NumAgprs: 0
; TotalNumVgprs: 9
; ScratchSize: 0
; MemoryBound: 0
; FloatMode: 240
; IeeeMode: 1
; LDSByteSize: 6144 bytes/workgroup (compile time only)
; SGPRBlocks: 1
; VGPRBlocks: 1
; NumSGPRsForWavesPerEU: 11
; NumVGPRsForWavesPerEU: 9
; AccumOffset: 12
; Occupancy: 8
; WaveLimiterHint : 1
; COMPUTE_PGM_RSRC2:SCRATCH_EN: 0
; COMPUTE_PGM_RSRC2:USER_SGPR: 6
; COMPUTE_PGM_RSRC2:TRAP_HANDLER: 0
; COMPUTE_PGM_RSRC2:TGID_X_EN: 1
; COMPUTE_PGM_RSRC2:TGID_Y_EN: 0
; COMPUTE_PGM_RSRC2:TGID_Z_EN: 0
; COMPUTE_PGM_RSRC2:TIDIG_COMP_CNT: 0
; COMPUTE_PGM_RSRC3_GFX90A:ACCUM_OFFSET: 2
; COMPUTE_PGM_RSRC3_GFX90A:TG_SPLIT: 0
	.section	.text._Z6kernelI18blocked_to_stripedN15benchmark_utils11custom_typeIffEELj256ELj4ELj100EEvPKT0_PKjPS4_,"axG",@progbits,_Z6kernelI18blocked_to_stripedN15benchmark_utils11custom_typeIffEELj256ELj4ELj100EEvPKT0_PKjPS4_,comdat
	.protected	_Z6kernelI18blocked_to_stripedN15benchmark_utils11custom_typeIffEELj256ELj4ELj100EEvPKT0_PKjPS4_ ; -- Begin function _Z6kernelI18blocked_to_stripedN15benchmark_utils11custom_typeIffEELj256ELj4ELj100EEvPKT0_PKjPS4_
	.globl	_Z6kernelI18blocked_to_stripedN15benchmark_utils11custom_typeIffEELj256ELj4ELj100EEvPKT0_PKjPS4_
	.p2align	8
	.type	_Z6kernelI18blocked_to_stripedN15benchmark_utils11custom_typeIffEELj256ELj4ELj100EEvPKT0_PKjPS4_,@function
_Z6kernelI18blocked_to_stripedN15benchmark_utils11custom_typeIffEELj256ELj4ELj100EEvPKT0_PKjPS4_: ; @_Z6kernelI18blocked_to_stripedN15benchmark_utils11custom_typeIffEELj256ELj4ELj100EEvPKT0_PKjPS4_
; %bb.0:
	s_load_dwordx2 s[2:3], s[4:5], 0x0
	s_lshl_b32 s0, s6, 10
	s_mov_b32 s1, 0
	s_lshl_b64 s[0:1], s[0:1], 3
	v_lshlrev_b32_e32 v1, 5, v0
	s_waitcnt lgkmcnt(0)
	s_add_u32 s2, s2, s0
	s_addc_u32 s3, s3, s1
	global_load_dwordx4 v[2:5], v1, s[2:3] offset:16
	global_load_dwordx4 v[6:9], v1, s[2:3]
	v_and_b32_e32 v10, 0xf8, v0
	v_or_b32_e32 v11, 0x100, v0
	v_or_b32_e32 v12, 0x200, v0
	;; [unrolled: 1-line block ×3, first 2 shown]
	v_add_u32_e32 v1, v10, v1
	v_lshrrev_b32_e32 v10, 5, v0
	v_lshrrev_b32_e32 v11, 5, v11
	;; [unrolled: 1-line block ×4, first 2 shown]
	v_add_lshl_u32 v10, v10, v0, 3
	v_add_lshl_u32 v11, v11, v0, 3
	;; [unrolled: 1-line block ×4, first 2 shown]
	s_movk_i32 s2, 0x64
.LBB21_1:                               ; =>This Inner Loop Header: Depth=1
	s_waitcnt vmcnt(0)
	ds_write2_b64 v1, v[6:7], v[8:9] offset1:1
	ds_write2_b64 v1, v[2:3], v[4:5] offset0:2 offset1:3
	s_waitcnt lgkmcnt(0)
	s_barrier
	ds_read_b64 v[6:7], v10
	ds_read_b64 v[8:9], v11 offset:2048
	ds_read_b64 v[2:3], v12 offset:4096
	;; [unrolled: 1-line block ×3, first 2 shown]
	s_add_i32 s2, s2, -1
	s_cmp_lg_u32 s2, 0
	s_waitcnt lgkmcnt(0)
	s_barrier
	s_cbranch_scc1 .LBB21_1
; %bb.2:
	s_load_dwordx2 s[2:3], s[4:5], 0x10
	v_lshlrev_b32_e32 v0, 3, v0
	s_waitcnt lgkmcnt(0)
	s_add_u32 s0, s2, s0
	s_addc_u32 s1, s3, s1
	v_mov_b32_e32 v1, s1
	v_add_co_u32_e32 v10, vcc, s0, v0
	v_addc_co_u32_e32 v1, vcc, 0, v1, vcc
	global_store_dwordx2 v0, v[6:7], s[0:1]
	global_store_dwordx2 v0, v[8:9], s[0:1] offset:2048
	v_add_co_u32_e32 v0, vcc, 0x1000, v10
	v_addc_co_u32_e32 v1, vcc, 0, v1, vcc
	global_store_dwordx2 v[0:1], v[2:3], off
	global_store_dwordx2 v[0:1], v[4:5], off offset:2048
	s_endpgm
	.section	.rodata,"a",@progbits
	.p2align	6, 0x0
	.amdhsa_kernel _Z6kernelI18blocked_to_stripedN15benchmark_utils11custom_typeIffEELj256ELj4ELj100EEvPKT0_PKjPS4_
		.amdhsa_group_segment_fixed_size 8448
		.amdhsa_private_segment_fixed_size 0
		.amdhsa_kernarg_size 24
		.amdhsa_user_sgpr_count 6
		.amdhsa_user_sgpr_private_segment_buffer 1
		.amdhsa_user_sgpr_dispatch_ptr 0
		.amdhsa_user_sgpr_queue_ptr 0
		.amdhsa_user_sgpr_kernarg_segment_ptr 1
		.amdhsa_user_sgpr_dispatch_id 0
		.amdhsa_user_sgpr_flat_scratch_init 0
		.amdhsa_user_sgpr_kernarg_preload_length 0
		.amdhsa_user_sgpr_kernarg_preload_offset 0
		.amdhsa_user_sgpr_private_segment_size 0
		.amdhsa_uses_dynamic_stack 0
		.amdhsa_system_sgpr_private_segment_wavefront_offset 0
		.amdhsa_system_sgpr_workgroup_id_x 1
		.amdhsa_system_sgpr_workgroup_id_y 0
		.amdhsa_system_sgpr_workgroup_id_z 0
		.amdhsa_system_sgpr_workgroup_info 0
		.amdhsa_system_vgpr_workitem_id 0
		.amdhsa_next_free_vgpr 14
		.amdhsa_next_free_sgpr 7
		.amdhsa_accum_offset 16
		.amdhsa_reserve_vcc 1
		.amdhsa_reserve_flat_scratch 0
		.amdhsa_float_round_mode_32 0
		.amdhsa_float_round_mode_16_64 0
		.amdhsa_float_denorm_mode_32 3
		.amdhsa_float_denorm_mode_16_64 3
		.amdhsa_dx10_clamp 1
		.amdhsa_ieee_mode 1
		.amdhsa_fp16_overflow 0
		.amdhsa_tg_split 0
		.amdhsa_exception_fp_ieee_invalid_op 0
		.amdhsa_exception_fp_denorm_src 0
		.amdhsa_exception_fp_ieee_div_zero 0
		.amdhsa_exception_fp_ieee_overflow 0
		.amdhsa_exception_fp_ieee_underflow 0
		.amdhsa_exception_fp_ieee_inexact 0
		.amdhsa_exception_int_div_zero 0
	.end_amdhsa_kernel
	.section	.text._Z6kernelI18blocked_to_stripedN15benchmark_utils11custom_typeIffEELj256ELj4ELj100EEvPKT0_PKjPS4_,"axG",@progbits,_Z6kernelI18blocked_to_stripedN15benchmark_utils11custom_typeIffEELj256ELj4ELj100EEvPKT0_PKjPS4_,comdat
.Lfunc_end21:
	.size	_Z6kernelI18blocked_to_stripedN15benchmark_utils11custom_typeIffEELj256ELj4ELj100EEvPKT0_PKjPS4_, .Lfunc_end21-_Z6kernelI18blocked_to_stripedN15benchmark_utils11custom_typeIffEELj256ELj4ELj100EEvPKT0_PKjPS4_
                                        ; -- End function
	.section	.AMDGPU.csdata,"",@progbits
; Kernel info:
; codeLenInByte = 304
; NumSgprs: 11
; NumVgprs: 14
; NumAgprs: 0
; TotalNumVgprs: 14
; ScratchSize: 0
; MemoryBound: 0
; FloatMode: 240
; IeeeMode: 1
; LDSByteSize: 8448 bytes/workgroup (compile time only)
; SGPRBlocks: 1
; VGPRBlocks: 1
; NumSGPRsForWavesPerEU: 11
; NumVGPRsForWavesPerEU: 14
; AccumOffset: 16
; Occupancy: 7
; WaveLimiterHint : 1
; COMPUTE_PGM_RSRC2:SCRATCH_EN: 0
; COMPUTE_PGM_RSRC2:USER_SGPR: 6
; COMPUTE_PGM_RSRC2:TRAP_HANDLER: 0
; COMPUTE_PGM_RSRC2:TGID_X_EN: 1
; COMPUTE_PGM_RSRC2:TGID_Y_EN: 0
; COMPUTE_PGM_RSRC2:TGID_Z_EN: 0
; COMPUTE_PGM_RSRC2:TIDIG_COMP_CNT: 0
; COMPUTE_PGM_RSRC3_GFX90A:ACCUM_OFFSET: 3
; COMPUTE_PGM_RSRC3_GFX90A:TG_SPLIT: 0
	.section	.text._Z6kernelI18blocked_to_stripedN15benchmark_utils11custom_typeIffEELj256ELj7ELj100EEvPKT0_PKjPS4_,"axG",@progbits,_Z6kernelI18blocked_to_stripedN15benchmark_utils11custom_typeIffEELj256ELj7ELj100EEvPKT0_PKjPS4_,comdat
	.protected	_Z6kernelI18blocked_to_stripedN15benchmark_utils11custom_typeIffEELj256ELj7ELj100EEvPKT0_PKjPS4_ ; -- Begin function _Z6kernelI18blocked_to_stripedN15benchmark_utils11custom_typeIffEELj256ELj7ELj100EEvPKT0_PKjPS4_
	.globl	_Z6kernelI18blocked_to_stripedN15benchmark_utils11custom_typeIffEELj256ELj7ELj100EEvPKT0_PKjPS4_
	.p2align	8
	.type	_Z6kernelI18blocked_to_stripedN15benchmark_utils11custom_typeIffEELj256ELj7ELj100EEvPKT0_PKjPS4_,@function
_Z6kernelI18blocked_to_stripedN15benchmark_utils11custom_typeIffEELj256ELj7ELj100EEvPKT0_PKjPS4_: ; @_Z6kernelI18blocked_to_stripedN15benchmark_utils11custom_typeIffEELj256ELj7ELj100EEvPKT0_PKjPS4_
; %bb.0:
	s_load_dwordx2 s[2:3], s[4:5], 0x0
	s_mul_i32 s0, s6, 0x700
	s_mov_b32 s1, 0
	s_lshl_b64 s[0:1], s[0:1], 3
	v_mul_u32_u24_e32 v1, 7, v0
	s_waitcnt lgkmcnt(0)
	s_add_u32 s2, s2, s0
	s_addc_u32 s3, s3, s1
	v_lshlrev_b32_e32 v1, 3, v1
	global_load_dwordx2 v[14:15], v1, s[2:3] offset:48
	global_load_dwordx4 v[2:5], v1, s[2:3] offset:32
	global_load_dwordx4 v[6:9], v1, s[2:3] offset:16
	global_load_dwordx4 v[10:13], v1, s[2:3]
	v_mul_i32_i24_e32 v16, 0xffffffd0, v0
	s_movk_i32 s2, 0x64
	v_add_u32_e32 v16, v1, v16
.LBB22_1:                               ; =>This Inner Loop Header: Depth=1
	s_waitcnt vmcnt(0)
	ds_write2_b64 v1, v[10:11], v[12:13] offset1:1
	ds_write2_b64 v1, v[6:7], v[8:9] offset0:2 offset1:3
	ds_write2_b64 v1, v[2:3], v[4:5] offset0:4 offset1:5
	ds_write_b64 v1, v[14:15] offset:48
	s_waitcnt lgkmcnt(0)
	s_barrier
	ds_read2st64_b64 v[10:13], v16 offset1:4
	ds_read2st64_b64 v[6:9], v16 offset0:8 offset1:12
	ds_read2st64_b64 v[2:5], v16 offset0:16 offset1:20
	ds_read_b64 v[14:15], v16 offset:12288
	s_add_i32 s2, s2, -1
	s_cmp_lg_u32 s2, 0
	s_waitcnt lgkmcnt(0)
	s_barrier
	s_cbranch_scc1 .LBB22_1
; %bb.2:
	s_load_dwordx2 s[2:3], s[4:5], 0x10
	v_lshlrev_b32_e32 v0, 3, v0
	s_waitcnt lgkmcnt(0)
	s_add_u32 s0, s2, s0
	s_addc_u32 s1, s3, s1
	v_mov_b32_e32 v1, s1
	v_add_co_u32_e32 v16, vcc, s0, v0
	v_addc_co_u32_e32 v17, vcc, 0, v1, vcc
	global_store_dwordx2 v0, v[10:11], s[0:1]
	global_store_dwordx2 v0, v[12:13], s[0:1] offset:2048
	v_add_co_u32_e32 v0, vcc, 0x1000, v16
	v_addc_co_u32_e32 v1, vcc, 0, v17, vcc
	global_store_dwordx2 v[0:1], v[6:7], off
	global_store_dwordx2 v[0:1], v[8:9], off offset:2048
	v_add_co_u32_e32 v0, vcc, 0x2000, v16
	v_addc_co_u32_e32 v1, vcc, 0, v17, vcc
	global_store_dwordx2 v[0:1], v[2:3], off
	global_store_dwordx2 v[0:1], v[4:5], off offset:2048
	v_add_co_u32_e32 v0, vcc, 0x3000, v16
	v_addc_co_u32_e32 v1, vcc, 0, v17, vcc
	global_store_dwordx2 v[0:1], v[14:15], off
	s_endpgm
	.section	.rodata,"a",@progbits
	.p2align	6, 0x0
	.amdhsa_kernel _Z6kernelI18blocked_to_stripedN15benchmark_utils11custom_typeIffEELj256ELj7ELj100EEvPKT0_PKjPS4_
		.amdhsa_group_segment_fixed_size 14336
		.amdhsa_private_segment_fixed_size 0
		.amdhsa_kernarg_size 24
		.amdhsa_user_sgpr_count 6
		.amdhsa_user_sgpr_private_segment_buffer 1
		.amdhsa_user_sgpr_dispatch_ptr 0
		.amdhsa_user_sgpr_queue_ptr 0
		.amdhsa_user_sgpr_kernarg_segment_ptr 1
		.amdhsa_user_sgpr_dispatch_id 0
		.amdhsa_user_sgpr_flat_scratch_init 0
		.amdhsa_user_sgpr_kernarg_preload_length 0
		.amdhsa_user_sgpr_kernarg_preload_offset 0
		.amdhsa_user_sgpr_private_segment_size 0
		.amdhsa_uses_dynamic_stack 0
		.amdhsa_system_sgpr_private_segment_wavefront_offset 0
		.amdhsa_system_sgpr_workgroup_id_x 1
		.amdhsa_system_sgpr_workgroup_id_y 0
		.amdhsa_system_sgpr_workgroup_id_z 0
		.amdhsa_system_sgpr_workgroup_info 0
		.amdhsa_system_vgpr_workitem_id 0
		.amdhsa_next_free_vgpr 18
		.amdhsa_next_free_sgpr 7
		.amdhsa_accum_offset 20
		.amdhsa_reserve_vcc 1
		.amdhsa_reserve_flat_scratch 0
		.amdhsa_float_round_mode_32 0
		.amdhsa_float_round_mode_16_64 0
		.amdhsa_float_denorm_mode_32 3
		.amdhsa_float_denorm_mode_16_64 3
		.amdhsa_dx10_clamp 1
		.amdhsa_ieee_mode 1
		.amdhsa_fp16_overflow 0
		.amdhsa_tg_split 0
		.amdhsa_exception_fp_ieee_invalid_op 0
		.amdhsa_exception_fp_denorm_src 0
		.amdhsa_exception_fp_ieee_div_zero 0
		.amdhsa_exception_fp_ieee_overflow 0
		.amdhsa_exception_fp_ieee_underflow 0
		.amdhsa_exception_fp_ieee_inexact 0
		.amdhsa_exception_int_div_zero 0
	.end_amdhsa_kernel
	.section	.text._Z6kernelI18blocked_to_stripedN15benchmark_utils11custom_typeIffEELj256ELj7ELj100EEvPKT0_PKjPS4_,"axG",@progbits,_Z6kernelI18blocked_to_stripedN15benchmark_utils11custom_typeIffEELj256ELj7ELj100EEvPKT0_PKjPS4_,comdat
.Lfunc_end22:
	.size	_Z6kernelI18blocked_to_stripedN15benchmark_utils11custom_typeIffEELj256ELj7ELj100EEvPKT0_PKjPS4_, .Lfunc_end22-_Z6kernelI18blocked_to_stripedN15benchmark_utils11custom_typeIffEELj256ELj7ELj100EEvPKT0_PKjPS4_
                                        ; -- End function
	.section	.AMDGPU.csdata,"",@progbits
; Kernel info:
; codeLenInByte = 320
; NumSgprs: 11
; NumVgprs: 18
; NumAgprs: 0
; TotalNumVgprs: 18
; ScratchSize: 0
; MemoryBound: 1
; FloatMode: 240
; IeeeMode: 1
; LDSByteSize: 14336 bytes/workgroup (compile time only)
; SGPRBlocks: 1
; VGPRBlocks: 2
; NumSGPRsForWavesPerEU: 11
; NumVGPRsForWavesPerEU: 18
; AccumOffset: 20
; Occupancy: 4
; WaveLimiterHint : 1
; COMPUTE_PGM_RSRC2:SCRATCH_EN: 0
; COMPUTE_PGM_RSRC2:USER_SGPR: 6
; COMPUTE_PGM_RSRC2:TRAP_HANDLER: 0
; COMPUTE_PGM_RSRC2:TGID_X_EN: 1
; COMPUTE_PGM_RSRC2:TGID_Y_EN: 0
; COMPUTE_PGM_RSRC2:TGID_Z_EN: 0
; COMPUTE_PGM_RSRC2:TIDIG_COMP_CNT: 0
; COMPUTE_PGM_RSRC3_GFX90A:ACCUM_OFFSET: 4
; COMPUTE_PGM_RSRC3_GFX90A:TG_SPLIT: 0
	.section	.text._Z6kernelI18blocked_to_stripedN15benchmark_utils11custom_typeIffEELj256ELj8ELj100EEvPKT0_PKjPS4_,"axG",@progbits,_Z6kernelI18blocked_to_stripedN15benchmark_utils11custom_typeIffEELj256ELj8ELj100EEvPKT0_PKjPS4_,comdat
	.protected	_Z6kernelI18blocked_to_stripedN15benchmark_utils11custom_typeIffEELj256ELj8ELj100EEvPKT0_PKjPS4_ ; -- Begin function _Z6kernelI18blocked_to_stripedN15benchmark_utils11custom_typeIffEELj256ELj8ELj100EEvPKT0_PKjPS4_
	.globl	_Z6kernelI18blocked_to_stripedN15benchmark_utils11custom_typeIffEELj256ELj8ELj100EEvPKT0_PKjPS4_
	.p2align	8
	.type	_Z6kernelI18blocked_to_stripedN15benchmark_utils11custom_typeIffEELj256ELj8ELj100EEvPKT0_PKjPS4_,@function
_Z6kernelI18blocked_to_stripedN15benchmark_utils11custom_typeIffEELj256ELj8ELj100EEvPKT0_PKjPS4_: ; @_Z6kernelI18blocked_to_stripedN15benchmark_utils11custom_typeIffEELj256ELj8ELj100EEvPKT0_PKjPS4_
; %bb.0:
	s_load_dwordx2 s[2:3], s[4:5], 0x0
	s_lshl_b32 s0, s6, 11
	s_mov_b32 s1, 0
	s_lshl_b64 s[0:1], s[0:1], 3
	v_lshlrev_b32_e32 v1, 6, v0
	s_waitcnt lgkmcnt(0)
	s_add_u32 s2, s2, s0
	s_addc_u32 s3, s3, s1
	global_load_dwordx4 v[2:5], v1, s[2:3] offset:48
	global_load_dwordx4 v[6:9], v1, s[2:3] offset:32
	global_load_dwordx4 v[10:13], v1, s[2:3] offset:16
	global_load_dwordx4 v[14:17], v1, s[2:3]
	v_lshlrev_b32_e32 v18, 1, v0
	v_and_b32_e32 v18, 0x1f8, v18
	v_or_b32_e32 v19, 0x100, v0
	v_or_b32_e32 v20, 0x200, v0
	;; [unrolled: 1-line block ×7, first 2 shown]
	v_add_u32_e32 v1, v18, v1
	v_lshrrev_b32_e32 v18, 5, v0
	v_lshrrev_b32_e32 v19, 5, v19
	;; [unrolled: 1-line block ×8, first 2 shown]
	v_add_lshl_u32 v18, v18, v0, 3
	v_add_lshl_u32 v19, v19, v0, 3
	;; [unrolled: 1-line block ×8, first 2 shown]
	s_movk_i32 s2, 0x64
.LBB23_1:                               ; =>This Inner Loop Header: Depth=1
	s_waitcnt vmcnt(0)
	ds_write2_b64 v1, v[14:15], v[16:17] offset1:1
	ds_write2_b64 v1, v[10:11], v[12:13] offset0:2 offset1:3
	ds_write2_b64 v1, v[6:7], v[8:9] offset0:4 offset1:5
	;; [unrolled: 1-line block ×3, first 2 shown]
	s_waitcnt lgkmcnt(0)
	s_barrier
	ds_read_b64 v[14:15], v18
	ds_read_b64 v[16:17], v19 offset:2048
	ds_read_b64 v[10:11], v20 offset:4096
	;; [unrolled: 1-line block ×7, first 2 shown]
	s_add_i32 s2, s2, -1
	s_cmp_lg_u32 s2, 0
	s_waitcnt lgkmcnt(0)
	s_barrier
	s_cbranch_scc1 .LBB23_1
; %bb.2:
	s_load_dwordx2 s[2:3], s[4:5], 0x10
	v_lshlrev_b32_e32 v0, 3, v0
	s_waitcnt lgkmcnt(0)
	s_add_u32 s0, s2, s0
	s_addc_u32 s1, s3, s1
	v_mov_b32_e32 v1, s1
	v_add_co_u32_e32 v18, vcc, s0, v0
	v_addc_co_u32_e32 v19, vcc, 0, v1, vcc
	global_store_dwordx2 v0, v[14:15], s[0:1]
	global_store_dwordx2 v0, v[16:17], s[0:1] offset:2048
	v_add_co_u32_e32 v0, vcc, 0x1000, v18
	v_addc_co_u32_e32 v1, vcc, 0, v19, vcc
	global_store_dwordx2 v[0:1], v[10:11], off
	global_store_dwordx2 v[0:1], v[12:13], off offset:2048
	v_add_co_u32_e32 v0, vcc, 0x2000, v18
	v_addc_co_u32_e32 v1, vcc, 0, v19, vcc
	global_store_dwordx2 v[0:1], v[6:7], off
	global_store_dwordx2 v[0:1], v[8:9], off offset:2048
	;; [unrolled: 4-line block ×3, first 2 shown]
	s_endpgm
	.section	.rodata,"a",@progbits
	.p2align	6, 0x0
	.amdhsa_kernel _Z6kernelI18blocked_to_stripedN15benchmark_utils11custom_typeIffEELj256ELj8ELj100EEvPKT0_PKjPS4_
		.amdhsa_group_segment_fixed_size 16896
		.amdhsa_private_segment_fixed_size 0
		.amdhsa_kernarg_size 24
		.amdhsa_user_sgpr_count 6
		.amdhsa_user_sgpr_private_segment_buffer 1
		.amdhsa_user_sgpr_dispatch_ptr 0
		.amdhsa_user_sgpr_queue_ptr 0
		.amdhsa_user_sgpr_kernarg_segment_ptr 1
		.amdhsa_user_sgpr_dispatch_id 0
		.amdhsa_user_sgpr_flat_scratch_init 0
		.amdhsa_user_sgpr_kernarg_preload_length 0
		.amdhsa_user_sgpr_kernarg_preload_offset 0
		.amdhsa_user_sgpr_private_segment_size 0
		.amdhsa_uses_dynamic_stack 0
		.amdhsa_system_sgpr_private_segment_wavefront_offset 0
		.amdhsa_system_sgpr_workgroup_id_x 1
		.amdhsa_system_sgpr_workgroup_id_y 0
		.amdhsa_system_sgpr_workgroup_id_z 0
		.amdhsa_system_sgpr_workgroup_info 0
		.amdhsa_system_vgpr_workitem_id 0
		.amdhsa_next_free_vgpr 26
		.amdhsa_next_free_sgpr 7
		.amdhsa_accum_offset 28
		.amdhsa_reserve_vcc 1
		.amdhsa_reserve_flat_scratch 0
		.amdhsa_float_round_mode_32 0
		.amdhsa_float_round_mode_16_64 0
		.amdhsa_float_denorm_mode_32 3
		.amdhsa_float_denorm_mode_16_64 3
		.amdhsa_dx10_clamp 1
		.amdhsa_ieee_mode 1
		.amdhsa_fp16_overflow 0
		.amdhsa_tg_split 0
		.amdhsa_exception_fp_ieee_invalid_op 0
		.amdhsa_exception_fp_denorm_src 0
		.amdhsa_exception_fp_ieee_div_zero 0
		.amdhsa_exception_fp_ieee_overflow 0
		.amdhsa_exception_fp_ieee_underflow 0
		.amdhsa_exception_fp_ieee_inexact 0
		.amdhsa_exception_int_div_zero 0
	.end_amdhsa_kernel
	.section	.text._Z6kernelI18blocked_to_stripedN15benchmark_utils11custom_typeIffEELj256ELj8ELj100EEvPKT0_PKjPS4_,"axG",@progbits,_Z6kernelI18blocked_to_stripedN15benchmark_utils11custom_typeIffEELj256ELj8ELj100EEvPKT0_PKjPS4_,comdat
.Lfunc_end23:
	.size	_Z6kernelI18blocked_to_stripedN15benchmark_utils11custom_typeIffEELj256ELj8ELj100EEvPKT0_PKjPS4_, .Lfunc_end23-_Z6kernelI18blocked_to_stripedN15benchmark_utils11custom_typeIffEELj256ELj8ELj100EEvPKT0_PKjPS4_
                                        ; -- End function
	.section	.AMDGPU.csdata,"",@progbits
; Kernel info:
; codeLenInByte = 508
; NumSgprs: 11
; NumVgprs: 26
; NumAgprs: 0
; TotalNumVgprs: 26
; ScratchSize: 0
; MemoryBound: 0
; FloatMode: 240
; IeeeMode: 1
; LDSByteSize: 16896 bytes/workgroup (compile time only)
; SGPRBlocks: 1
; VGPRBlocks: 3
; NumSGPRsForWavesPerEU: 11
; NumVGPRsForWavesPerEU: 26
; AccumOffset: 28
; Occupancy: 3
; WaveLimiterHint : 1
; COMPUTE_PGM_RSRC2:SCRATCH_EN: 0
; COMPUTE_PGM_RSRC2:USER_SGPR: 6
; COMPUTE_PGM_RSRC2:TRAP_HANDLER: 0
; COMPUTE_PGM_RSRC2:TGID_X_EN: 1
; COMPUTE_PGM_RSRC2:TGID_Y_EN: 0
; COMPUTE_PGM_RSRC2:TGID_Z_EN: 0
; COMPUTE_PGM_RSRC2:TIDIG_COMP_CNT: 0
; COMPUTE_PGM_RSRC3_GFX90A:ACCUM_OFFSET: 6
; COMPUTE_PGM_RSRC3_GFX90A:TG_SPLIT: 0
	.section	.text._Z6kernelI18blocked_to_stripedN15benchmark_utils11custom_typeIddEELj256ELj1ELj100EEvPKT0_PKjPS4_,"axG",@progbits,_Z6kernelI18blocked_to_stripedN15benchmark_utils11custom_typeIddEELj256ELj1ELj100EEvPKT0_PKjPS4_,comdat
	.protected	_Z6kernelI18blocked_to_stripedN15benchmark_utils11custom_typeIddEELj256ELj1ELj100EEvPKT0_PKjPS4_ ; -- Begin function _Z6kernelI18blocked_to_stripedN15benchmark_utils11custom_typeIddEELj256ELj1ELj100EEvPKT0_PKjPS4_
	.globl	_Z6kernelI18blocked_to_stripedN15benchmark_utils11custom_typeIddEELj256ELj1ELj100EEvPKT0_PKjPS4_
	.p2align	8
	.type	_Z6kernelI18blocked_to_stripedN15benchmark_utils11custom_typeIddEELj256ELj1ELj100EEvPKT0_PKjPS4_,@function
_Z6kernelI18blocked_to_stripedN15benchmark_utils11custom_typeIddEELj256ELj1ELj100EEvPKT0_PKjPS4_: ; @_Z6kernelI18blocked_to_stripedN15benchmark_utils11custom_typeIddEELj256ELj1ELj100EEvPKT0_PKjPS4_
; %bb.0:
	s_load_dwordx2 s[2:3], s[4:5], 0x0
	s_lshl_b32 s0, s6, 8
	s_mov_b32 s1, 0
	s_lshl_b64 s[0:1], s[0:1], 4
	v_lshlrev_b32_e32 v1, 4, v0
	s_waitcnt lgkmcnt(0)
	s_add_u32 s2, s2, s0
	s_addc_u32 s3, s3, s1
	global_load_dwordx4 v[2:5], v1, s[2:3]
	s_movk_i32 s2, 0x64
.LBB24_1:                               ; =>This Inner Loop Header: Depth=1
	s_waitcnt vmcnt(0)
	ds_write_b128 v1, v[2:5]
	s_waitcnt lgkmcnt(0)
	s_barrier
	ds_read_b128 v[2:5], v1
	s_add_i32 s2, s2, -1
	s_cmp_lg_u32 s2, 0
	s_waitcnt lgkmcnt(0)
	s_barrier
	s_cbranch_scc1 .LBB24_1
; %bb.2:
	s_load_dwordx2 s[2:3], s[4:5], 0x10
	v_lshlrev_b32_e32 v0, 4, v0
	s_waitcnt lgkmcnt(0)
	s_add_u32 s0, s2, s0
	s_addc_u32 s1, s3, s1
	global_store_dwordx4 v0, v[2:5], s[0:1]
	s_endpgm
	.section	.rodata,"a",@progbits
	.p2align	6, 0x0
	.amdhsa_kernel _Z6kernelI18blocked_to_stripedN15benchmark_utils11custom_typeIddEELj256ELj1ELj100EEvPKT0_PKjPS4_
		.amdhsa_group_segment_fixed_size 4096
		.amdhsa_private_segment_fixed_size 0
		.amdhsa_kernarg_size 24
		.amdhsa_user_sgpr_count 6
		.amdhsa_user_sgpr_private_segment_buffer 1
		.amdhsa_user_sgpr_dispatch_ptr 0
		.amdhsa_user_sgpr_queue_ptr 0
		.amdhsa_user_sgpr_kernarg_segment_ptr 1
		.amdhsa_user_sgpr_dispatch_id 0
		.amdhsa_user_sgpr_flat_scratch_init 0
		.amdhsa_user_sgpr_kernarg_preload_length 0
		.amdhsa_user_sgpr_kernarg_preload_offset 0
		.amdhsa_user_sgpr_private_segment_size 0
		.amdhsa_uses_dynamic_stack 0
		.amdhsa_system_sgpr_private_segment_wavefront_offset 0
		.amdhsa_system_sgpr_workgroup_id_x 1
		.amdhsa_system_sgpr_workgroup_id_y 0
		.amdhsa_system_sgpr_workgroup_id_z 0
		.amdhsa_system_sgpr_workgroup_info 0
		.amdhsa_system_vgpr_workitem_id 0
		.amdhsa_next_free_vgpr 6
		.amdhsa_next_free_sgpr 7
		.amdhsa_accum_offset 8
		.amdhsa_reserve_vcc 0
		.amdhsa_reserve_flat_scratch 0
		.amdhsa_float_round_mode_32 0
		.amdhsa_float_round_mode_16_64 0
		.amdhsa_float_denorm_mode_32 3
		.amdhsa_float_denorm_mode_16_64 3
		.amdhsa_dx10_clamp 1
		.amdhsa_ieee_mode 1
		.amdhsa_fp16_overflow 0
		.amdhsa_tg_split 0
		.amdhsa_exception_fp_ieee_invalid_op 0
		.amdhsa_exception_fp_denorm_src 0
		.amdhsa_exception_fp_ieee_div_zero 0
		.amdhsa_exception_fp_ieee_overflow 0
		.amdhsa_exception_fp_ieee_underflow 0
		.amdhsa_exception_fp_ieee_inexact 0
		.amdhsa_exception_int_div_zero 0
	.end_amdhsa_kernel
	.section	.text._Z6kernelI18blocked_to_stripedN15benchmark_utils11custom_typeIddEELj256ELj1ELj100EEvPKT0_PKjPS4_,"axG",@progbits,_Z6kernelI18blocked_to_stripedN15benchmark_utils11custom_typeIddEELj256ELj1ELj100EEvPKT0_PKjPS4_,comdat
.Lfunc_end24:
	.size	_Z6kernelI18blocked_to_stripedN15benchmark_utils11custom_typeIddEELj256ELj1ELj100EEvPKT0_PKjPS4_, .Lfunc_end24-_Z6kernelI18blocked_to_stripedN15benchmark_utils11custom_typeIddEELj256ELj1ELj100EEvPKT0_PKjPS4_
                                        ; -- End function
	.section	.AMDGPU.csdata,"",@progbits
; Kernel info:
; codeLenInByte = 132
; NumSgprs: 11
; NumVgprs: 6
; NumAgprs: 0
; TotalNumVgprs: 6
; ScratchSize: 0
; MemoryBound: 0
; FloatMode: 240
; IeeeMode: 1
; LDSByteSize: 4096 bytes/workgroup (compile time only)
; SGPRBlocks: 1
; VGPRBlocks: 0
; NumSGPRsForWavesPerEU: 11
; NumVGPRsForWavesPerEU: 6
; AccumOffset: 8
; Occupancy: 8
; WaveLimiterHint : 0
; COMPUTE_PGM_RSRC2:SCRATCH_EN: 0
; COMPUTE_PGM_RSRC2:USER_SGPR: 6
; COMPUTE_PGM_RSRC2:TRAP_HANDLER: 0
; COMPUTE_PGM_RSRC2:TGID_X_EN: 1
; COMPUTE_PGM_RSRC2:TGID_Y_EN: 0
; COMPUTE_PGM_RSRC2:TGID_Z_EN: 0
; COMPUTE_PGM_RSRC2:TIDIG_COMP_CNT: 0
; COMPUTE_PGM_RSRC3_GFX90A:ACCUM_OFFSET: 1
; COMPUTE_PGM_RSRC3_GFX90A:TG_SPLIT: 0
	.section	.text._Z6kernelI18blocked_to_stripedN15benchmark_utils11custom_typeIddEELj256ELj2ELj100EEvPKT0_PKjPS4_,"axG",@progbits,_Z6kernelI18blocked_to_stripedN15benchmark_utils11custom_typeIddEELj256ELj2ELj100EEvPKT0_PKjPS4_,comdat
	.protected	_Z6kernelI18blocked_to_stripedN15benchmark_utils11custom_typeIddEELj256ELj2ELj100EEvPKT0_PKjPS4_ ; -- Begin function _Z6kernelI18blocked_to_stripedN15benchmark_utils11custom_typeIddEELj256ELj2ELj100EEvPKT0_PKjPS4_
	.globl	_Z6kernelI18blocked_to_stripedN15benchmark_utils11custom_typeIddEELj256ELj2ELj100EEvPKT0_PKjPS4_
	.p2align	8
	.type	_Z6kernelI18blocked_to_stripedN15benchmark_utils11custom_typeIddEELj256ELj2ELj100EEvPKT0_PKjPS4_,@function
_Z6kernelI18blocked_to_stripedN15benchmark_utils11custom_typeIddEELj256ELj2ELj100EEvPKT0_PKjPS4_: ; @_Z6kernelI18blocked_to_stripedN15benchmark_utils11custom_typeIddEELj256ELj2ELj100EEvPKT0_PKjPS4_
; %bb.0:
	s_load_dwordx2 s[2:3], s[4:5], 0x0
	s_lshl_b32 s0, s6, 9
	s_mov_b32 s1, 0
	s_lshl_b64 s[0:1], s[0:1], 4
	v_lshlrev_b32_e32 v1, 5, v0
	s_waitcnt lgkmcnt(0)
	s_add_u32 s2, s2, s0
	s_addc_u32 s3, s3, s1
	global_load_dwordx4 v[2:5], v1, s[2:3] offset:16
	global_load_dwordx4 v[6:9], v1, s[2:3]
	v_and_b32_e32 v10, 0xf0, v0
	v_or_b32_e32 v11, 0x100, v0
	v_add_u32_e32 v1, v10, v1
	v_lshrrev_b32_e32 v10, 5, v0
	v_lshrrev_b32_e32 v11, 5, v11
	v_add_lshl_u32 v10, v10, v0, 4
	v_add_lshl_u32 v11, v11, v0, 4
	s_movk_i32 s2, 0x64
.LBB25_1:                               ; =>This Inner Loop Header: Depth=1
	s_waitcnt vmcnt(0)
	ds_write_b128 v1, v[6:9]
	ds_write_b128 v1, v[2:5] offset:16
	s_waitcnt lgkmcnt(0)
	s_barrier
	ds_read_b128 v[6:9], v10
	ds_read_b128 v[2:5], v11 offset:4096
	s_add_i32 s2, s2, -1
	s_cmp_lg_u32 s2, 0
	s_waitcnt lgkmcnt(0)
	s_barrier
	s_cbranch_scc1 .LBB25_1
; %bb.2:
	s_load_dwordx2 s[2:3], s[4:5], 0x10
	v_lshlrev_b32_e32 v0, 4, v0
	s_waitcnt lgkmcnt(0)
	s_add_u32 s0, s2, s0
	s_addc_u32 s1, s3, s1
	v_mov_b32_e32 v1, s1
	v_add_co_u32_e32 v10, vcc, s0, v0
	v_addc_co_u32_e32 v1, vcc, 0, v1, vcc
	global_store_dwordx4 v0, v[6:9], s[0:1]
	v_add_co_u32_e32 v0, vcc, 0x1000, v10
	v_addc_co_u32_e32 v1, vcc, 0, v1, vcc
	global_store_dwordx4 v[0:1], v[2:5], off
	s_endpgm
	.section	.rodata,"a",@progbits
	.p2align	6, 0x0
	.amdhsa_kernel _Z6kernelI18blocked_to_stripedN15benchmark_utils11custom_typeIddEELj256ELj2ELj100EEvPKT0_PKjPS4_
		.amdhsa_group_segment_fixed_size 8448
		.amdhsa_private_segment_fixed_size 0
		.amdhsa_kernarg_size 24
		.amdhsa_user_sgpr_count 6
		.amdhsa_user_sgpr_private_segment_buffer 1
		.amdhsa_user_sgpr_dispatch_ptr 0
		.amdhsa_user_sgpr_queue_ptr 0
		.amdhsa_user_sgpr_kernarg_segment_ptr 1
		.amdhsa_user_sgpr_dispatch_id 0
		.amdhsa_user_sgpr_flat_scratch_init 0
		.amdhsa_user_sgpr_kernarg_preload_length 0
		.amdhsa_user_sgpr_kernarg_preload_offset 0
		.amdhsa_user_sgpr_private_segment_size 0
		.amdhsa_uses_dynamic_stack 0
		.amdhsa_system_sgpr_private_segment_wavefront_offset 0
		.amdhsa_system_sgpr_workgroup_id_x 1
		.amdhsa_system_sgpr_workgroup_id_y 0
		.amdhsa_system_sgpr_workgroup_id_z 0
		.amdhsa_system_sgpr_workgroup_info 0
		.amdhsa_system_vgpr_workitem_id 0
		.amdhsa_next_free_vgpr 12
		.amdhsa_next_free_sgpr 7
		.amdhsa_accum_offset 12
		.amdhsa_reserve_vcc 1
		.amdhsa_reserve_flat_scratch 0
		.amdhsa_float_round_mode_32 0
		.amdhsa_float_round_mode_16_64 0
		.amdhsa_float_denorm_mode_32 3
		.amdhsa_float_denorm_mode_16_64 3
		.amdhsa_dx10_clamp 1
		.amdhsa_ieee_mode 1
		.amdhsa_fp16_overflow 0
		.amdhsa_tg_split 0
		.amdhsa_exception_fp_ieee_invalid_op 0
		.amdhsa_exception_fp_denorm_src 0
		.amdhsa_exception_fp_ieee_div_zero 0
		.amdhsa_exception_fp_ieee_overflow 0
		.amdhsa_exception_fp_ieee_underflow 0
		.amdhsa_exception_fp_ieee_inexact 0
		.amdhsa_exception_int_div_zero 0
	.end_amdhsa_kernel
	.section	.text._Z6kernelI18blocked_to_stripedN15benchmark_utils11custom_typeIddEELj256ELj2ELj100EEvPKT0_PKjPS4_,"axG",@progbits,_Z6kernelI18blocked_to_stripedN15benchmark_utils11custom_typeIddEELj256ELj2ELj100EEvPKT0_PKjPS4_,comdat
.Lfunc_end25:
	.size	_Z6kernelI18blocked_to_stripedN15benchmark_utils11custom_typeIddEELj256ELj2ELj100EEvPKT0_PKjPS4_, .Lfunc_end25-_Z6kernelI18blocked_to_stripedN15benchmark_utils11custom_typeIddEELj256ELj2ELj100EEvPKT0_PKjPS4_
                                        ; -- End function
	.section	.AMDGPU.csdata,"",@progbits
; Kernel info:
; codeLenInByte = 232
; NumSgprs: 11
; NumVgprs: 12
; NumAgprs: 0
; TotalNumVgprs: 12
; ScratchSize: 0
; MemoryBound: 0
; FloatMode: 240
; IeeeMode: 1
; LDSByteSize: 8448 bytes/workgroup (compile time only)
; SGPRBlocks: 1
; VGPRBlocks: 1
; NumSGPRsForWavesPerEU: 11
; NumVGPRsForWavesPerEU: 12
; AccumOffset: 12
; Occupancy: 7
; WaveLimiterHint : 1
; COMPUTE_PGM_RSRC2:SCRATCH_EN: 0
; COMPUTE_PGM_RSRC2:USER_SGPR: 6
; COMPUTE_PGM_RSRC2:TRAP_HANDLER: 0
; COMPUTE_PGM_RSRC2:TGID_X_EN: 1
; COMPUTE_PGM_RSRC2:TGID_Y_EN: 0
; COMPUTE_PGM_RSRC2:TGID_Z_EN: 0
; COMPUTE_PGM_RSRC2:TIDIG_COMP_CNT: 0
; COMPUTE_PGM_RSRC3_GFX90A:ACCUM_OFFSET: 2
; COMPUTE_PGM_RSRC3_GFX90A:TG_SPLIT: 0
	.section	.text._Z6kernelI18blocked_to_stripedN15benchmark_utils11custom_typeIddEELj256ELj3ELj100EEvPKT0_PKjPS4_,"axG",@progbits,_Z6kernelI18blocked_to_stripedN15benchmark_utils11custom_typeIddEELj256ELj3ELj100EEvPKT0_PKjPS4_,comdat
	.protected	_Z6kernelI18blocked_to_stripedN15benchmark_utils11custom_typeIddEELj256ELj3ELj100EEvPKT0_PKjPS4_ ; -- Begin function _Z6kernelI18blocked_to_stripedN15benchmark_utils11custom_typeIddEELj256ELj3ELj100EEvPKT0_PKjPS4_
	.globl	_Z6kernelI18blocked_to_stripedN15benchmark_utils11custom_typeIddEELj256ELj3ELj100EEvPKT0_PKjPS4_
	.p2align	8
	.type	_Z6kernelI18blocked_to_stripedN15benchmark_utils11custom_typeIddEELj256ELj3ELj100EEvPKT0_PKjPS4_,@function
_Z6kernelI18blocked_to_stripedN15benchmark_utils11custom_typeIddEELj256ELj3ELj100EEvPKT0_PKjPS4_: ; @_Z6kernelI18blocked_to_stripedN15benchmark_utils11custom_typeIddEELj256ELj3ELj100EEvPKT0_PKjPS4_
; %bb.0:
	s_load_dwordx2 s[2:3], s[4:5], 0x0
	s_mul_i32 s0, s6, 0x300
	s_mov_b32 s1, 0
	s_lshl_b64 s[0:1], s[0:1], 4
	v_mul_u32_u24_e32 v1, 3, v0
	s_waitcnt lgkmcnt(0)
	s_add_u32 s2, s2, s0
	s_addc_u32 s3, s3, s1
	v_lshlrev_b32_e32 v1, 4, v1
	global_load_dwordx4 v[2:5], v1, s[2:3] offset:32
	global_load_dwordx4 v[6:9], v1, s[2:3] offset:16
	global_load_dwordx4 v[10:13], v1, s[2:3]
	v_lshlrev_b32_e32 v14, 5, v0
	v_sub_u32_e32 v14, 0, v14
	s_movk_i32 s2, 0x64
	v_add_u32_e32 v14, v1, v14
.LBB26_1:                               ; =>This Inner Loop Header: Depth=1
	s_waitcnt vmcnt(0)
	ds_write_b128 v1, v[10:13]
	ds_write_b128 v1, v[6:9] offset:16
	ds_write_b128 v1, v[2:5] offset:32
	s_waitcnt lgkmcnt(0)
	s_barrier
	ds_read_b128 v[10:13], v14
	ds_read_b128 v[6:9], v14 offset:4096
	ds_read_b128 v[2:5], v14 offset:8192
	s_add_i32 s2, s2, -1
	s_cmp_lg_u32 s2, 0
	s_waitcnt lgkmcnt(0)
	s_barrier
	s_cbranch_scc1 .LBB26_1
; %bb.2:
	s_load_dwordx2 s[2:3], s[4:5], 0x10
	v_lshlrev_b32_e32 v0, 4, v0
	s_waitcnt lgkmcnt(0)
	s_add_u32 s0, s2, s0
	s_addc_u32 s1, s3, s1
	v_mov_b32_e32 v1, s1
	v_add_co_u32_e32 v14, vcc, s0, v0
	v_addc_co_u32_e32 v15, vcc, 0, v1, vcc
	global_store_dwordx4 v0, v[10:13], s[0:1]
	v_add_co_u32_e32 v0, vcc, 0x1000, v14
	v_addc_co_u32_e32 v1, vcc, 0, v15, vcc
	global_store_dwordx4 v[0:1], v[6:9], off
	v_add_co_u32_e32 v0, vcc, 0x2000, v14
	v_addc_co_u32_e32 v1, vcc, 0, v15, vcc
	global_store_dwordx4 v[0:1], v[2:5], off
	s_endpgm
	.section	.rodata,"a",@progbits
	.p2align	6, 0x0
	.amdhsa_kernel _Z6kernelI18blocked_to_stripedN15benchmark_utils11custom_typeIddEELj256ELj3ELj100EEvPKT0_PKjPS4_
		.amdhsa_group_segment_fixed_size 12288
		.amdhsa_private_segment_fixed_size 0
		.amdhsa_kernarg_size 24
		.amdhsa_user_sgpr_count 6
		.amdhsa_user_sgpr_private_segment_buffer 1
		.amdhsa_user_sgpr_dispatch_ptr 0
		.amdhsa_user_sgpr_queue_ptr 0
		.amdhsa_user_sgpr_kernarg_segment_ptr 1
		.amdhsa_user_sgpr_dispatch_id 0
		.amdhsa_user_sgpr_flat_scratch_init 0
		.amdhsa_user_sgpr_kernarg_preload_length 0
		.amdhsa_user_sgpr_kernarg_preload_offset 0
		.amdhsa_user_sgpr_private_segment_size 0
		.amdhsa_uses_dynamic_stack 0
		.amdhsa_system_sgpr_private_segment_wavefront_offset 0
		.amdhsa_system_sgpr_workgroup_id_x 1
		.amdhsa_system_sgpr_workgroup_id_y 0
		.amdhsa_system_sgpr_workgroup_id_z 0
		.amdhsa_system_sgpr_workgroup_info 0
		.amdhsa_system_vgpr_workitem_id 0
		.amdhsa_next_free_vgpr 16
		.amdhsa_next_free_sgpr 7
		.amdhsa_accum_offset 16
		.amdhsa_reserve_vcc 1
		.amdhsa_reserve_flat_scratch 0
		.amdhsa_float_round_mode_32 0
		.amdhsa_float_round_mode_16_64 0
		.amdhsa_float_denorm_mode_32 3
		.amdhsa_float_denorm_mode_16_64 3
		.amdhsa_dx10_clamp 1
		.amdhsa_ieee_mode 1
		.amdhsa_fp16_overflow 0
		.amdhsa_tg_split 0
		.amdhsa_exception_fp_ieee_invalid_op 0
		.amdhsa_exception_fp_denorm_src 0
		.amdhsa_exception_fp_ieee_div_zero 0
		.amdhsa_exception_fp_ieee_overflow 0
		.amdhsa_exception_fp_ieee_underflow 0
		.amdhsa_exception_fp_ieee_inexact 0
		.amdhsa_exception_int_div_zero 0
	.end_amdhsa_kernel
	.section	.text._Z6kernelI18blocked_to_stripedN15benchmark_utils11custom_typeIddEELj256ELj3ELj100EEvPKT0_PKjPS4_,"axG",@progbits,_Z6kernelI18blocked_to_stripedN15benchmark_utils11custom_typeIddEELj256ELj3ELj100EEvPKT0_PKjPS4_,comdat
.Lfunc_end26:
	.size	_Z6kernelI18blocked_to_stripedN15benchmark_utils11custom_typeIddEELj256ELj3ELj100EEvPKT0_PKjPS4_, .Lfunc_end26-_Z6kernelI18blocked_to_stripedN15benchmark_utils11custom_typeIddEELj256ELj3ELj100EEvPKT0_PKjPS4_
                                        ; -- End function
	.section	.AMDGPU.csdata,"",@progbits
; Kernel info:
; codeLenInByte = 252
; NumSgprs: 11
; NumVgprs: 16
; NumAgprs: 0
; TotalNumVgprs: 16
; ScratchSize: 0
; MemoryBound: 1
; FloatMode: 240
; IeeeMode: 1
; LDSByteSize: 12288 bytes/workgroup (compile time only)
; SGPRBlocks: 1
; VGPRBlocks: 1
; NumSGPRsForWavesPerEU: 11
; NumVGPRsForWavesPerEU: 16
; AccumOffset: 16
; Occupancy: 5
; WaveLimiterHint : 1
; COMPUTE_PGM_RSRC2:SCRATCH_EN: 0
; COMPUTE_PGM_RSRC2:USER_SGPR: 6
; COMPUTE_PGM_RSRC2:TRAP_HANDLER: 0
; COMPUTE_PGM_RSRC2:TGID_X_EN: 1
; COMPUTE_PGM_RSRC2:TGID_Y_EN: 0
; COMPUTE_PGM_RSRC2:TGID_Z_EN: 0
; COMPUTE_PGM_RSRC2:TIDIG_COMP_CNT: 0
; COMPUTE_PGM_RSRC3_GFX90A:ACCUM_OFFSET: 3
; COMPUTE_PGM_RSRC3_GFX90A:TG_SPLIT: 0
	.section	.text._Z6kernelI18blocked_to_stripedN15benchmark_utils11custom_typeIddEELj256ELj4ELj100EEvPKT0_PKjPS4_,"axG",@progbits,_Z6kernelI18blocked_to_stripedN15benchmark_utils11custom_typeIddEELj256ELj4ELj100EEvPKT0_PKjPS4_,comdat
	.protected	_Z6kernelI18blocked_to_stripedN15benchmark_utils11custom_typeIddEELj256ELj4ELj100EEvPKT0_PKjPS4_ ; -- Begin function _Z6kernelI18blocked_to_stripedN15benchmark_utils11custom_typeIddEELj256ELj4ELj100EEvPKT0_PKjPS4_
	.globl	_Z6kernelI18blocked_to_stripedN15benchmark_utils11custom_typeIddEELj256ELj4ELj100EEvPKT0_PKjPS4_
	.p2align	8
	.type	_Z6kernelI18blocked_to_stripedN15benchmark_utils11custom_typeIddEELj256ELj4ELj100EEvPKT0_PKjPS4_,@function
_Z6kernelI18blocked_to_stripedN15benchmark_utils11custom_typeIddEELj256ELj4ELj100EEvPKT0_PKjPS4_: ; @_Z6kernelI18blocked_to_stripedN15benchmark_utils11custom_typeIddEELj256ELj4ELj100EEvPKT0_PKjPS4_
; %bb.0:
	s_load_dwordx2 s[2:3], s[4:5], 0x0
	s_lshl_b32 s0, s6, 10
	s_mov_b32 s1, 0
	s_lshl_b64 s[0:1], s[0:1], 4
	v_lshlrev_b32_e32 v1, 6, v0
	s_waitcnt lgkmcnt(0)
	s_add_u32 s2, s2, s0
	s_addc_u32 s3, s3, s1
	global_load_dwordx4 v[2:5], v1, s[2:3] offset:48
	global_load_dwordx4 v[6:9], v1, s[2:3] offset:32
	;; [unrolled: 1-line block ×3, first 2 shown]
	global_load_dwordx4 v[14:17], v1, s[2:3]
	v_lshlrev_b32_e32 v18, 1, v0
	v_and_b32_e32 v18, 0x1f0, v18
	v_or_b32_e32 v19, 0x100, v0
	v_or_b32_e32 v20, 0x200, v0
	;; [unrolled: 1-line block ×3, first 2 shown]
	v_add_u32_e32 v1, v18, v1
	v_lshrrev_b32_e32 v18, 5, v0
	v_lshrrev_b32_e32 v19, 5, v19
	;; [unrolled: 1-line block ×4, first 2 shown]
	v_add_lshl_u32 v18, v18, v0, 4
	v_add_lshl_u32 v19, v19, v0, 4
	;; [unrolled: 1-line block ×4, first 2 shown]
	s_movk_i32 s2, 0x64
.LBB27_1:                               ; =>This Inner Loop Header: Depth=1
	s_waitcnt vmcnt(0)
	ds_write_b128 v1, v[14:17]
	ds_write_b128 v1, v[10:13] offset:16
	ds_write_b128 v1, v[6:9] offset:32
	;; [unrolled: 1-line block ×3, first 2 shown]
	s_waitcnt lgkmcnt(0)
	s_barrier
	ds_read_b128 v[14:17], v18
	ds_read_b128 v[10:13], v19 offset:4096
	ds_read_b128 v[6:9], v20 offset:8192
	;; [unrolled: 1-line block ×3, first 2 shown]
	s_add_i32 s2, s2, -1
	s_cmp_lg_u32 s2, 0
	s_waitcnt lgkmcnt(0)
	s_barrier
	s_cbranch_scc1 .LBB27_1
; %bb.2:
	s_load_dwordx2 s[2:3], s[4:5], 0x10
	v_lshlrev_b32_e32 v0, 4, v0
	s_waitcnt lgkmcnt(0)
	s_add_u32 s0, s2, s0
	s_addc_u32 s1, s3, s1
	v_mov_b32_e32 v1, s1
	v_add_co_u32_e32 v18, vcc, s0, v0
	v_addc_co_u32_e32 v19, vcc, 0, v1, vcc
	global_store_dwordx4 v0, v[14:17], s[0:1]
	v_add_co_u32_e32 v0, vcc, 0x1000, v18
	v_addc_co_u32_e32 v1, vcc, 0, v19, vcc
	global_store_dwordx4 v[0:1], v[10:13], off
	v_add_co_u32_e32 v0, vcc, 0x2000, v18
	v_addc_co_u32_e32 v1, vcc, 0, v19, vcc
	global_store_dwordx4 v[0:1], v[6:9], off
	;; [unrolled: 3-line block ×3, first 2 shown]
	s_endpgm
	.section	.rodata,"a",@progbits
	.p2align	6, 0x0
	.amdhsa_kernel _Z6kernelI18blocked_to_stripedN15benchmark_utils11custom_typeIddEELj256ELj4ELj100EEvPKT0_PKjPS4_
		.amdhsa_group_segment_fixed_size 16896
		.amdhsa_private_segment_fixed_size 0
		.amdhsa_kernarg_size 24
		.amdhsa_user_sgpr_count 6
		.amdhsa_user_sgpr_private_segment_buffer 1
		.amdhsa_user_sgpr_dispatch_ptr 0
		.amdhsa_user_sgpr_queue_ptr 0
		.amdhsa_user_sgpr_kernarg_segment_ptr 1
		.amdhsa_user_sgpr_dispatch_id 0
		.amdhsa_user_sgpr_flat_scratch_init 0
		.amdhsa_user_sgpr_kernarg_preload_length 0
		.amdhsa_user_sgpr_kernarg_preload_offset 0
		.amdhsa_user_sgpr_private_segment_size 0
		.amdhsa_uses_dynamic_stack 0
		.amdhsa_system_sgpr_private_segment_wavefront_offset 0
		.amdhsa_system_sgpr_workgroup_id_x 1
		.amdhsa_system_sgpr_workgroup_id_y 0
		.amdhsa_system_sgpr_workgroup_id_z 0
		.amdhsa_system_sgpr_workgroup_info 0
		.amdhsa_system_vgpr_workitem_id 0
		.amdhsa_next_free_vgpr 22
		.amdhsa_next_free_sgpr 7
		.amdhsa_accum_offset 24
		.amdhsa_reserve_vcc 1
		.amdhsa_reserve_flat_scratch 0
		.amdhsa_float_round_mode_32 0
		.amdhsa_float_round_mode_16_64 0
		.amdhsa_float_denorm_mode_32 3
		.amdhsa_float_denorm_mode_16_64 3
		.amdhsa_dx10_clamp 1
		.amdhsa_ieee_mode 1
		.amdhsa_fp16_overflow 0
		.amdhsa_tg_split 0
		.amdhsa_exception_fp_ieee_invalid_op 0
		.amdhsa_exception_fp_denorm_src 0
		.amdhsa_exception_fp_ieee_div_zero 0
		.amdhsa_exception_fp_ieee_overflow 0
		.amdhsa_exception_fp_ieee_underflow 0
		.amdhsa_exception_fp_ieee_inexact 0
		.amdhsa_exception_int_div_zero 0
	.end_amdhsa_kernel
	.section	.text._Z6kernelI18blocked_to_stripedN15benchmark_utils11custom_typeIddEELj256ELj4ELj100EEvPKT0_PKjPS4_,"axG",@progbits,_Z6kernelI18blocked_to_stripedN15benchmark_utils11custom_typeIddEELj256ELj4ELj100EEvPKT0_PKjPS4_,comdat
.Lfunc_end27:
	.size	_Z6kernelI18blocked_to_stripedN15benchmark_utils11custom_typeIddEELj256ELj4ELj100EEvPKT0_PKjPS4_, .Lfunc_end27-_Z6kernelI18blocked_to_stripedN15benchmark_utils11custom_typeIddEELj256ELj4ELj100EEvPKT0_PKjPS4_
                                        ; -- End function
	.section	.AMDGPU.csdata,"",@progbits
; Kernel info:
; codeLenInByte = 364
; NumSgprs: 11
; NumVgprs: 22
; NumAgprs: 0
; TotalNumVgprs: 22
; ScratchSize: 0
; MemoryBound: 0
; FloatMode: 240
; IeeeMode: 1
; LDSByteSize: 16896 bytes/workgroup (compile time only)
; SGPRBlocks: 1
; VGPRBlocks: 2
; NumSGPRsForWavesPerEU: 11
; NumVGPRsForWavesPerEU: 22
; AccumOffset: 24
; Occupancy: 3
; WaveLimiterHint : 1
; COMPUTE_PGM_RSRC2:SCRATCH_EN: 0
; COMPUTE_PGM_RSRC2:USER_SGPR: 6
; COMPUTE_PGM_RSRC2:TRAP_HANDLER: 0
; COMPUTE_PGM_RSRC2:TGID_X_EN: 1
; COMPUTE_PGM_RSRC2:TGID_Y_EN: 0
; COMPUTE_PGM_RSRC2:TGID_Z_EN: 0
; COMPUTE_PGM_RSRC2:TIDIG_COMP_CNT: 0
; COMPUTE_PGM_RSRC3_GFX90A:ACCUM_OFFSET: 5
; COMPUTE_PGM_RSRC3_GFX90A:TG_SPLIT: 0
	.section	.text._Z6kernelI18blocked_to_stripedN15benchmark_utils11custom_typeIddEELj256ELj7ELj100EEvPKT0_PKjPS4_,"axG",@progbits,_Z6kernelI18blocked_to_stripedN15benchmark_utils11custom_typeIddEELj256ELj7ELj100EEvPKT0_PKjPS4_,comdat
	.protected	_Z6kernelI18blocked_to_stripedN15benchmark_utils11custom_typeIddEELj256ELj7ELj100EEvPKT0_PKjPS4_ ; -- Begin function _Z6kernelI18blocked_to_stripedN15benchmark_utils11custom_typeIddEELj256ELj7ELj100EEvPKT0_PKjPS4_
	.globl	_Z6kernelI18blocked_to_stripedN15benchmark_utils11custom_typeIddEELj256ELj7ELj100EEvPKT0_PKjPS4_
	.p2align	8
	.type	_Z6kernelI18blocked_to_stripedN15benchmark_utils11custom_typeIddEELj256ELj7ELj100EEvPKT0_PKjPS4_,@function
_Z6kernelI18blocked_to_stripedN15benchmark_utils11custom_typeIddEELj256ELj7ELj100EEvPKT0_PKjPS4_: ; @_Z6kernelI18blocked_to_stripedN15benchmark_utils11custom_typeIddEELj256ELj7ELj100EEvPKT0_PKjPS4_
; %bb.0:
	s_load_dwordx2 s[2:3], s[4:5], 0x0
	s_mul_i32 s0, s6, 0x700
	s_mov_b32 s1, 0
	s_lshl_b64 s[0:1], s[0:1], 4
	v_mul_u32_u24_e32 v1, 7, v0
	s_waitcnt lgkmcnt(0)
	s_add_u32 s2, s2, s0
	s_addc_u32 s3, s3, s1
	v_lshlrev_b32_e32 v1, 4, v1
	global_load_dwordx4 v[2:5], v1, s[2:3] offset:48
	global_load_dwordx4 v[6:9], v1, s[2:3] offset:32
	;; [unrolled: 1-line block ×3, first 2 shown]
	global_load_dwordx4 v[22:25], v1, s[2:3]
	global_load_dwordx4 v[10:13], v1, s[2:3] offset:96
	global_load_dwordx4 v[18:21], v1, s[2:3] offset:80
	;; [unrolled: 1-line block ×3, first 2 shown]
	v_mul_i32_i24_e32 v30, 0xffffffa0, v0
	s_movk_i32 s2, 0x64
	v_add_u32_e32 v30, v1, v30
.LBB28_1:                               ; =>This Inner Loop Header: Depth=1
	s_waitcnt vmcnt(3)
	ds_write_b128 v1, v[22:25]
	ds_write_b128 v1, v[14:17] offset:16
	ds_write_b128 v1, v[6:9] offset:32
	;; [unrolled: 1-line block ×3, first 2 shown]
	s_waitcnt vmcnt(0)
	ds_write_b128 v1, v[26:29] offset:64
	ds_write_b128 v1, v[18:21] offset:80
	;; [unrolled: 1-line block ×3, first 2 shown]
	s_waitcnt lgkmcnt(0)
	s_barrier
	ds_read_b128 v[22:25], v30
	ds_read_b128 v[14:17], v30 offset:4096
	ds_read_b128 v[6:9], v30 offset:8192
	;; [unrolled: 1-line block ×6, first 2 shown]
	s_add_i32 s2, s2, -1
	s_cmp_lg_u32 s2, 0
	s_waitcnt lgkmcnt(0)
	s_barrier
	s_cbranch_scc1 .LBB28_1
; %bb.2:
	s_load_dwordx2 s[2:3], s[4:5], 0x10
	v_lshlrev_b32_e32 v0, 4, v0
	s_waitcnt lgkmcnt(0)
	s_add_u32 s0, s2, s0
	s_addc_u32 s1, s3, s1
	v_mov_b32_e32 v1, s1
	v_add_co_u32_e32 v30, vcc, s0, v0
	v_addc_co_u32_e32 v31, vcc, 0, v1, vcc
	global_store_dwordx4 v0, v[22:25], s[0:1]
	v_add_co_u32_e32 v0, vcc, 0x1000, v30
	v_addc_co_u32_e32 v1, vcc, 0, v31, vcc
	global_store_dwordx4 v[0:1], v[14:17], off
	v_add_co_u32_e32 v0, vcc, 0x2000, v30
	v_addc_co_u32_e32 v1, vcc, 0, v31, vcc
	global_store_dwordx4 v[0:1], v[6:9], off
	;; [unrolled: 3-line block ×6, first 2 shown]
	s_endpgm
	.section	.rodata,"a",@progbits
	.p2align	6, 0x0
	.amdhsa_kernel _Z6kernelI18blocked_to_stripedN15benchmark_utils11custom_typeIddEELj256ELj7ELj100EEvPKT0_PKjPS4_
		.amdhsa_group_segment_fixed_size 28672
		.amdhsa_private_segment_fixed_size 0
		.amdhsa_kernarg_size 24
		.amdhsa_user_sgpr_count 6
		.amdhsa_user_sgpr_private_segment_buffer 1
		.amdhsa_user_sgpr_dispatch_ptr 0
		.amdhsa_user_sgpr_queue_ptr 0
		.amdhsa_user_sgpr_kernarg_segment_ptr 1
		.amdhsa_user_sgpr_dispatch_id 0
		.amdhsa_user_sgpr_flat_scratch_init 0
		.amdhsa_user_sgpr_kernarg_preload_length 0
		.amdhsa_user_sgpr_kernarg_preload_offset 0
		.amdhsa_user_sgpr_private_segment_size 0
		.amdhsa_uses_dynamic_stack 0
		.amdhsa_system_sgpr_private_segment_wavefront_offset 0
		.amdhsa_system_sgpr_workgroup_id_x 1
		.amdhsa_system_sgpr_workgroup_id_y 0
		.amdhsa_system_sgpr_workgroup_id_z 0
		.amdhsa_system_sgpr_workgroup_info 0
		.amdhsa_system_vgpr_workitem_id 0
		.amdhsa_next_free_vgpr 32
		.amdhsa_next_free_sgpr 7
		.amdhsa_accum_offset 32
		.amdhsa_reserve_vcc 1
		.amdhsa_reserve_flat_scratch 0
		.amdhsa_float_round_mode_32 0
		.amdhsa_float_round_mode_16_64 0
		.amdhsa_float_denorm_mode_32 3
		.amdhsa_float_denorm_mode_16_64 3
		.amdhsa_dx10_clamp 1
		.amdhsa_ieee_mode 1
		.amdhsa_fp16_overflow 0
		.amdhsa_tg_split 0
		.amdhsa_exception_fp_ieee_invalid_op 0
		.amdhsa_exception_fp_denorm_src 0
		.amdhsa_exception_fp_ieee_div_zero 0
		.amdhsa_exception_fp_ieee_overflow 0
		.amdhsa_exception_fp_ieee_underflow 0
		.amdhsa_exception_fp_ieee_inexact 0
		.amdhsa_exception_int_div_zero 0
	.end_amdhsa_kernel
	.section	.text._Z6kernelI18blocked_to_stripedN15benchmark_utils11custom_typeIddEELj256ELj7ELj100EEvPKT0_PKjPS4_,"axG",@progbits,_Z6kernelI18blocked_to_stripedN15benchmark_utils11custom_typeIddEELj256ELj7ELj100EEvPKT0_PKjPS4_,comdat
.Lfunc_end28:
	.size	_Z6kernelI18blocked_to_stripedN15benchmark_utils11custom_typeIddEELj256ELj7ELj100EEvPKT0_PKjPS4_, .Lfunc_end28-_Z6kernelI18blocked_to_stripedN15benchmark_utils11custom_typeIddEELj256ELj7ELj100EEvPKT0_PKjPS4_
                                        ; -- End function
	.section	.AMDGPU.csdata,"",@progbits
; Kernel info:
; codeLenInByte = 432
; NumSgprs: 11
; NumVgprs: 32
; NumAgprs: 0
; TotalNumVgprs: 32
; ScratchSize: 0
; MemoryBound: 1
; FloatMode: 240
; IeeeMode: 1
; LDSByteSize: 28672 bytes/workgroup (compile time only)
; SGPRBlocks: 1
; VGPRBlocks: 3
; NumSGPRsForWavesPerEU: 11
; NumVGPRsForWavesPerEU: 32
; AccumOffset: 32
; Occupancy: 2
; WaveLimiterHint : 1
; COMPUTE_PGM_RSRC2:SCRATCH_EN: 0
; COMPUTE_PGM_RSRC2:USER_SGPR: 6
; COMPUTE_PGM_RSRC2:TRAP_HANDLER: 0
; COMPUTE_PGM_RSRC2:TGID_X_EN: 1
; COMPUTE_PGM_RSRC2:TGID_Y_EN: 0
; COMPUTE_PGM_RSRC2:TGID_Z_EN: 0
; COMPUTE_PGM_RSRC2:TIDIG_COMP_CNT: 0
; COMPUTE_PGM_RSRC3_GFX90A:ACCUM_OFFSET: 7
; COMPUTE_PGM_RSRC3_GFX90A:TG_SPLIT: 0
	.section	.text._Z6kernelI18blocked_to_stripedN15benchmark_utils11custom_typeIddEELj256ELj8ELj100EEvPKT0_PKjPS4_,"axG",@progbits,_Z6kernelI18blocked_to_stripedN15benchmark_utils11custom_typeIddEELj256ELj8ELj100EEvPKT0_PKjPS4_,comdat
	.protected	_Z6kernelI18blocked_to_stripedN15benchmark_utils11custom_typeIddEELj256ELj8ELj100EEvPKT0_PKjPS4_ ; -- Begin function _Z6kernelI18blocked_to_stripedN15benchmark_utils11custom_typeIddEELj256ELj8ELj100EEvPKT0_PKjPS4_
	.globl	_Z6kernelI18blocked_to_stripedN15benchmark_utils11custom_typeIddEELj256ELj8ELj100EEvPKT0_PKjPS4_
	.p2align	8
	.type	_Z6kernelI18blocked_to_stripedN15benchmark_utils11custom_typeIddEELj256ELj8ELj100EEvPKT0_PKjPS4_,@function
_Z6kernelI18blocked_to_stripedN15benchmark_utils11custom_typeIddEELj256ELj8ELj100EEvPKT0_PKjPS4_: ; @_Z6kernelI18blocked_to_stripedN15benchmark_utils11custom_typeIddEELj256ELj8ELj100EEvPKT0_PKjPS4_
; %bb.0:
	s_load_dwordx2 s[2:3], s[4:5], 0x0
	s_lshl_b32 s0, s6, 11
	s_mov_b32 s1, 0
	s_lshl_b64 s[0:1], s[0:1], 4
	v_lshlrev_b32_e32 v1, 7, v0
	s_waitcnt lgkmcnt(0)
	s_add_u32 s2, s2, s0
	s_addc_u32 s3, s3, s1
	global_load_dwordx4 v[2:5], v1, s[2:3] offset:48
	global_load_dwordx4 v[10:13], v1, s[2:3] offset:32
	;; [unrolled: 1-line block ×3, first 2 shown]
	global_load_dwordx4 v[26:29], v1, s[2:3]
	global_load_dwordx4 v[6:9], v1, s[2:3] offset:112
	global_load_dwordx4 v[14:17], v1, s[2:3] offset:96
	;; [unrolled: 1-line block ×4, first 2 shown]
	v_lshlrev_b32_e32 v34, 2, v0
	v_and_b32_e32 v34, 0x3f0, v34
	v_or_b32_e32 v35, 0x100, v0
	v_or_b32_e32 v36, 0x200, v0
	;; [unrolled: 1-line block ×7, first 2 shown]
	v_add_u32_e32 v1, v34, v1
	v_lshrrev_b32_e32 v34, 5, v0
	v_lshrrev_b32_e32 v35, 5, v35
	;; [unrolled: 1-line block ×8, first 2 shown]
	v_add_lshl_u32 v34, v34, v0, 4
	v_add_lshl_u32 v35, v35, v0, 4
	;; [unrolled: 1-line block ×8, first 2 shown]
	s_movk_i32 s2, 0x64
.LBB29_1:                               ; =>This Inner Loop Header: Depth=1
	s_waitcnt vmcnt(4)
	ds_write_b128 v1, v[26:29]
	ds_write_b128 v1, v[18:21] offset:16
	ds_write_b128 v1, v[10:13] offset:32
	;; [unrolled: 1-line block ×3, first 2 shown]
	s_waitcnt vmcnt(0)
	ds_write_b128 v1, v[30:33] offset:64
	ds_write_b128 v1, v[22:25] offset:80
	;; [unrolled: 1-line block ×4, first 2 shown]
	s_waitcnt lgkmcnt(0)
	s_barrier
	ds_read_b128 v[26:29], v34
	ds_read_b128 v[18:21], v35 offset:4096
	ds_read_b128 v[10:13], v36 offset:8192
	;; [unrolled: 1-line block ×7, first 2 shown]
	s_add_i32 s2, s2, -1
	s_cmp_lg_u32 s2, 0
	s_waitcnt lgkmcnt(0)
	s_barrier
	s_cbranch_scc1 .LBB29_1
; %bb.2:
	s_load_dwordx2 s[2:3], s[4:5], 0x10
	v_lshlrev_b32_e32 v0, 4, v0
	s_waitcnt lgkmcnt(0)
	s_add_u32 s0, s2, s0
	s_addc_u32 s1, s3, s1
	v_mov_b32_e32 v1, s1
	v_add_co_u32_e32 v34, vcc, s0, v0
	v_addc_co_u32_e32 v35, vcc, 0, v1, vcc
	global_store_dwordx4 v0, v[26:29], s[0:1]
	v_add_co_u32_e32 v0, vcc, 0x1000, v34
	v_addc_co_u32_e32 v1, vcc, 0, v35, vcc
	global_store_dwordx4 v[0:1], v[18:21], off
	v_add_co_u32_e32 v0, vcc, 0x2000, v34
	v_addc_co_u32_e32 v1, vcc, 0, v35, vcc
	global_store_dwordx4 v[0:1], v[10:13], off
	;; [unrolled: 3-line block ×7, first 2 shown]
	s_endpgm
	.section	.rodata,"a",@progbits
	.p2align	6, 0x0
	.amdhsa_kernel _Z6kernelI18blocked_to_stripedN15benchmark_utils11custom_typeIddEELj256ELj8ELj100EEvPKT0_PKjPS4_
		.amdhsa_group_segment_fixed_size 33792
		.amdhsa_private_segment_fixed_size 0
		.amdhsa_kernarg_size 24
		.amdhsa_user_sgpr_count 6
		.amdhsa_user_sgpr_private_segment_buffer 1
		.amdhsa_user_sgpr_dispatch_ptr 0
		.amdhsa_user_sgpr_queue_ptr 0
		.amdhsa_user_sgpr_kernarg_segment_ptr 1
		.amdhsa_user_sgpr_dispatch_id 0
		.amdhsa_user_sgpr_flat_scratch_init 0
		.amdhsa_user_sgpr_kernarg_preload_length 0
		.amdhsa_user_sgpr_kernarg_preload_offset 0
		.amdhsa_user_sgpr_private_segment_size 0
		.amdhsa_uses_dynamic_stack 0
		.amdhsa_system_sgpr_private_segment_wavefront_offset 0
		.amdhsa_system_sgpr_workgroup_id_x 1
		.amdhsa_system_sgpr_workgroup_id_y 0
		.amdhsa_system_sgpr_workgroup_id_z 0
		.amdhsa_system_sgpr_workgroup_info 0
		.amdhsa_system_vgpr_workitem_id 0
		.amdhsa_next_free_vgpr 42
		.amdhsa_next_free_sgpr 7
		.amdhsa_accum_offset 44
		.amdhsa_reserve_vcc 1
		.amdhsa_reserve_flat_scratch 0
		.amdhsa_float_round_mode_32 0
		.amdhsa_float_round_mode_16_64 0
		.amdhsa_float_denorm_mode_32 3
		.amdhsa_float_denorm_mode_16_64 3
		.amdhsa_dx10_clamp 1
		.amdhsa_ieee_mode 1
		.amdhsa_fp16_overflow 0
		.amdhsa_tg_split 0
		.amdhsa_exception_fp_ieee_invalid_op 0
		.amdhsa_exception_fp_denorm_src 0
		.amdhsa_exception_fp_ieee_div_zero 0
		.amdhsa_exception_fp_ieee_overflow 0
		.amdhsa_exception_fp_ieee_underflow 0
		.amdhsa_exception_fp_ieee_inexact 0
		.amdhsa_exception_int_div_zero 0
	.end_amdhsa_kernel
	.section	.text._Z6kernelI18blocked_to_stripedN15benchmark_utils11custom_typeIddEELj256ELj8ELj100EEvPKT0_PKjPS4_,"axG",@progbits,_Z6kernelI18blocked_to_stripedN15benchmark_utils11custom_typeIddEELj256ELj8ELj100EEvPKT0_PKjPS4_,comdat
.Lfunc_end29:
	.size	_Z6kernelI18blocked_to_stripedN15benchmark_utils11custom_typeIddEELj256ELj8ELj100EEvPKT0_PKjPS4_, .Lfunc_end29-_Z6kernelI18blocked_to_stripedN15benchmark_utils11custom_typeIddEELj256ELj8ELj100EEvPKT0_PKjPS4_
                                        ; -- End function
	.section	.AMDGPU.csdata,"",@progbits
; Kernel info:
; codeLenInByte = 624
; NumSgprs: 11
; NumVgprs: 42
; NumAgprs: 0
; TotalNumVgprs: 42
; ScratchSize: 0
; MemoryBound: 0
; FloatMode: 240
; IeeeMode: 1
; LDSByteSize: 33792 bytes/workgroup (compile time only)
; SGPRBlocks: 1
; VGPRBlocks: 5
; NumSGPRsForWavesPerEU: 11
; NumVGPRsForWavesPerEU: 42
; AccumOffset: 44
; Occupancy: 1
; WaveLimiterHint : 1
; COMPUTE_PGM_RSRC2:SCRATCH_EN: 0
; COMPUTE_PGM_RSRC2:USER_SGPR: 6
; COMPUTE_PGM_RSRC2:TRAP_HANDLER: 0
; COMPUTE_PGM_RSRC2:TGID_X_EN: 1
; COMPUTE_PGM_RSRC2:TGID_Y_EN: 0
; COMPUTE_PGM_RSRC2:TGID_Z_EN: 0
; COMPUTE_PGM_RSRC2:TIDIG_COMP_CNT: 0
; COMPUTE_PGM_RSRC3_GFX90A:ACCUM_OFFSET: 10
; COMPUTE_PGM_RSRC3_GFX90A:TG_SPLIT: 0
	.section	.text._Z6kernelI18striped_to_blockediLj256ELj1ELj100EEvPKT0_PKjPS1_,"axG",@progbits,_Z6kernelI18striped_to_blockediLj256ELj1ELj100EEvPKT0_PKjPS1_,comdat
	.protected	_Z6kernelI18striped_to_blockediLj256ELj1ELj100EEvPKT0_PKjPS1_ ; -- Begin function _Z6kernelI18striped_to_blockediLj256ELj1ELj100EEvPKT0_PKjPS1_
	.globl	_Z6kernelI18striped_to_blockediLj256ELj1ELj100EEvPKT0_PKjPS1_
	.p2align	8
	.type	_Z6kernelI18striped_to_blockediLj256ELj1ELj100EEvPKT0_PKjPS1_,@function
_Z6kernelI18striped_to_blockediLj256ELj1ELj100EEvPKT0_PKjPS1_: ; @_Z6kernelI18striped_to_blockediLj256ELj1ELj100EEvPKT0_PKjPS1_
; %bb.0:
	s_load_dwordx2 s[2:3], s[4:5], 0x0
	s_lshl_b32 s0, s6, 8
	s_mov_b32 s1, 0
	s_lshl_b64 s[0:1], s[0:1], 2
	v_lshlrev_b32_e32 v2, 2, v0
	s_waitcnt lgkmcnt(0)
	s_add_u32 s2, s2, s0
	s_addc_u32 s3, s3, s1
	global_load_dword v1, v2, s[2:3]
	s_movk_i32 s2, 0x64
.LBB30_1:                               ; =>This Inner Loop Header: Depth=1
	s_waitcnt vmcnt(0)
	ds_write_b32 v2, v1
	s_waitcnt lgkmcnt(0)
	s_barrier
	ds_read_b32 v1, v2
	s_add_i32 s2, s2, -1
	s_cmp_lg_u32 s2, 0
	s_waitcnt lgkmcnt(0)
	s_barrier
	s_cbranch_scc1 .LBB30_1
; %bb.2:
	s_load_dwordx2 s[2:3], s[4:5], 0x10
	v_lshlrev_b32_e32 v0, 2, v0
	s_waitcnt lgkmcnt(0)
	s_add_u32 s0, s2, s0
	s_addc_u32 s1, s3, s1
	global_store_dword v0, v1, s[0:1]
	s_endpgm
	.section	.rodata,"a",@progbits
	.p2align	6, 0x0
	.amdhsa_kernel _Z6kernelI18striped_to_blockediLj256ELj1ELj100EEvPKT0_PKjPS1_
		.amdhsa_group_segment_fixed_size 1024
		.amdhsa_private_segment_fixed_size 0
		.amdhsa_kernarg_size 24
		.amdhsa_user_sgpr_count 6
		.amdhsa_user_sgpr_private_segment_buffer 1
		.amdhsa_user_sgpr_dispatch_ptr 0
		.amdhsa_user_sgpr_queue_ptr 0
		.amdhsa_user_sgpr_kernarg_segment_ptr 1
		.amdhsa_user_sgpr_dispatch_id 0
		.amdhsa_user_sgpr_flat_scratch_init 0
		.amdhsa_user_sgpr_kernarg_preload_length 0
		.amdhsa_user_sgpr_kernarg_preload_offset 0
		.amdhsa_user_sgpr_private_segment_size 0
		.amdhsa_uses_dynamic_stack 0
		.amdhsa_system_sgpr_private_segment_wavefront_offset 0
		.amdhsa_system_sgpr_workgroup_id_x 1
		.amdhsa_system_sgpr_workgroup_id_y 0
		.amdhsa_system_sgpr_workgroup_id_z 0
		.amdhsa_system_sgpr_workgroup_info 0
		.amdhsa_system_vgpr_workitem_id 0
		.amdhsa_next_free_vgpr 3
		.amdhsa_next_free_sgpr 7
		.amdhsa_accum_offset 4
		.amdhsa_reserve_vcc 0
		.amdhsa_reserve_flat_scratch 0
		.amdhsa_float_round_mode_32 0
		.amdhsa_float_round_mode_16_64 0
		.amdhsa_float_denorm_mode_32 3
		.amdhsa_float_denorm_mode_16_64 3
		.amdhsa_dx10_clamp 1
		.amdhsa_ieee_mode 1
		.amdhsa_fp16_overflow 0
		.amdhsa_tg_split 0
		.amdhsa_exception_fp_ieee_invalid_op 0
		.amdhsa_exception_fp_denorm_src 0
		.amdhsa_exception_fp_ieee_div_zero 0
		.amdhsa_exception_fp_ieee_overflow 0
		.amdhsa_exception_fp_ieee_underflow 0
		.amdhsa_exception_fp_ieee_inexact 0
		.amdhsa_exception_int_div_zero 0
	.end_amdhsa_kernel
	.section	.text._Z6kernelI18striped_to_blockediLj256ELj1ELj100EEvPKT0_PKjPS1_,"axG",@progbits,_Z6kernelI18striped_to_blockediLj256ELj1ELj100EEvPKT0_PKjPS1_,comdat
.Lfunc_end30:
	.size	_Z6kernelI18striped_to_blockediLj256ELj1ELj100EEvPKT0_PKjPS1_, .Lfunc_end30-_Z6kernelI18striped_to_blockediLj256ELj1ELj100EEvPKT0_PKjPS1_
                                        ; -- End function
	.section	.AMDGPU.csdata,"",@progbits
; Kernel info:
; codeLenInByte = 132
; NumSgprs: 11
; NumVgprs: 3
; NumAgprs: 0
; TotalNumVgprs: 3
; ScratchSize: 0
; MemoryBound: 0
; FloatMode: 240
; IeeeMode: 1
; LDSByteSize: 1024 bytes/workgroup (compile time only)
; SGPRBlocks: 1
; VGPRBlocks: 0
; NumSGPRsForWavesPerEU: 11
; NumVGPRsForWavesPerEU: 3
; AccumOffset: 4
; Occupancy: 8
; WaveLimiterHint : 0
; COMPUTE_PGM_RSRC2:SCRATCH_EN: 0
; COMPUTE_PGM_RSRC2:USER_SGPR: 6
; COMPUTE_PGM_RSRC2:TRAP_HANDLER: 0
; COMPUTE_PGM_RSRC2:TGID_X_EN: 1
; COMPUTE_PGM_RSRC2:TGID_Y_EN: 0
; COMPUTE_PGM_RSRC2:TGID_Z_EN: 0
; COMPUTE_PGM_RSRC2:TIDIG_COMP_CNT: 0
; COMPUTE_PGM_RSRC3_GFX90A:ACCUM_OFFSET: 0
; COMPUTE_PGM_RSRC3_GFX90A:TG_SPLIT: 0
	.section	.text._Z6kernelI18striped_to_blockediLj256ELj2ELj100EEvPKT0_PKjPS1_,"axG",@progbits,_Z6kernelI18striped_to_blockediLj256ELj2ELj100EEvPKT0_PKjPS1_,comdat
	.protected	_Z6kernelI18striped_to_blockediLj256ELj2ELj100EEvPKT0_PKjPS1_ ; -- Begin function _Z6kernelI18striped_to_blockediLj256ELj2ELj100EEvPKT0_PKjPS1_
	.globl	_Z6kernelI18striped_to_blockediLj256ELj2ELj100EEvPKT0_PKjPS1_
	.p2align	8
	.type	_Z6kernelI18striped_to_blockediLj256ELj2ELj100EEvPKT0_PKjPS1_,@function
_Z6kernelI18striped_to_blockediLj256ELj2ELj100EEvPKT0_PKjPS1_: ; @_Z6kernelI18striped_to_blockediLj256ELj2ELj100EEvPKT0_PKjPS1_
; %bb.0:
	s_load_dwordx2 s[2:3], s[4:5], 0x0
	s_lshl_b32 s0, s6, 9
	s_mov_b32 s1, 0
	s_lshl_b64 s[0:1], s[0:1], 2
	v_lshlrev_b32_e32 v1, 2, v0
	s_waitcnt lgkmcnt(0)
	s_add_u32 s2, s2, s0
	s_addc_u32 s3, s3, s1
	global_load_dword v2, v1, s[2:3]
	global_load_dword v3, v1, s[2:3] offset:1024
	v_or_b32_e32 v5, 0x100, v0
	v_lshrrev_b32_e32 v4, 3, v0
	v_lshrrev_b32_e32 v5, 3, v5
	v_and_b32_e32 v4, 28, v4
	v_and_b32_e32 v5, 60, v5
	v_add_u32_e32 v4, v4, v1
	v_add_u32_e32 v5, v5, v1
	v_lshlrev_b32_e32 v1, 1, v0
	v_lshrrev_b32_e32 v0, 4, v0
	v_add_lshl_u32 v0, v0, v1, 2
	s_movk_i32 s2, 0x64
.LBB31_1:                               ; =>This Inner Loop Header: Depth=1
	s_waitcnt vmcnt(1)
	ds_write_b32 v4, v2
	s_waitcnt vmcnt(0)
	ds_write_b32 v5, v3 offset:1024
	s_waitcnt lgkmcnt(0)
	s_barrier
	ds_read2_b32 v[2:3], v0 offset1:1
	s_add_i32 s2, s2, -1
	s_cmp_lg_u32 s2, 0
	s_waitcnt lgkmcnt(0)
	s_barrier
	s_cbranch_scc1 .LBB31_1
; %bb.2:
	s_load_dwordx2 s[2:3], s[4:5], 0x10
	v_lshlrev_b32_e32 v0, 2, v1
	s_waitcnt lgkmcnt(0)
	s_add_u32 s0, s2, s0
	s_addc_u32 s1, s3, s1
	global_store_dwordx2 v0, v[2:3], s[0:1]
	s_endpgm
	.section	.rodata,"a",@progbits
	.p2align	6, 0x0
	.amdhsa_kernel _Z6kernelI18striped_to_blockediLj256ELj2ELj100EEvPKT0_PKjPS1_
		.amdhsa_group_segment_fixed_size 2112
		.amdhsa_private_segment_fixed_size 0
		.amdhsa_kernarg_size 24
		.amdhsa_user_sgpr_count 6
		.amdhsa_user_sgpr_private_segment_buffer 1
		.amdhsa_user_sgpr_dispatch_ptr 0
		.amdhsa_user_sgpr_queue_ptr 0
		.amdhsa_user_sgpr_kernarg_segment_ptr 1
		.amdhsa_user_sgpr_dispatch_id 0
		.amdhsa_user_sgpr_flat_scratch_init 0
		.amdhsa_user_sgpr_kernarg_preload_length 0
		.amdhsa_user_sgpr_kernarg_preload_offset 0
		.amdhsa_user_sgpr_private_segment_size 0
		.amdhsa_uses_dynamic_stack 0
		.amdhsa_system_sgpr_private_segment_wavefront_offset 0
		.amdhsa_system_sgpr_workgroup_id_x 1
		.amdhsa_system_sgpr_workgroup_id_y 0
		.amdhsa_system_sgpr_workgroup_id_z 0
		.amdhsa_system_sgpr_workgroup_info 0
		.amdhsa_system_vgpr_workitem_id 0
		.amdhsa_next_free_vgpr 6
		.amdhsa_next_free_sgpr 7
		.amdhsa_accum_offset 8
		.amdhsa_reserve_vcc 0
		.amdhsa_reserve_flat_scratch 0
		.amdhsa_float_round_mode_32 0
		.amdhsa_float_round_mode_16_64 0
		.amdhsa_float_denorm_mode_32 3
		.amdhsa_float_denorm_mode_16_64 3
		.amdhsa_dx10_clamp 1
		.amdhsa_ieee_mode 1
		.amdhsa_fp16_overflow 0
		.amdhsa_tg_split 0
		.amdhsa_exception_fp_ieee_invalid_op 0
		.amdhsa_exception_fp_denorm_src 0
		.amdhsa_exception_fp_ieee_div_zero 0
		.amdhsa_exception_fp_ieee_overflow 0
		.amdhsa_exception_fp_ieee_underflow 0
		.amdhsa_exception_fp_ieee_inexact 0
		.amdhsa_exception_int_div_zero 0
	.end_amdhsa_kernel
	.section	.text._Z6kernelI18striped_to_blockediLj256ELj2ELj100EEvPKT0_PKjPS1_,"axG",@progbits,_Z6kernelI18striped_to_blockediLj256ELj2ELj100EEvPKT0_PKjPS1_,comdat
.Lfunc_end31:
	.size	_Z6kernelI18striped_to_blockediLj256ELj2ELj100EEvPKT0_PKjPS1_, .Lfunc_end31-_Z6kernelI18striped_to_blockediLj256ELj2ELj100EEvPKT0_PKjPS1_
                                        ; -- End function
	.section	.AMDGPU.csdata,"",@progbits
; Kernel info:
; codeLenInByte = 200
; NumSgprs: 11
; NumVgprs: 6
; NumAgprs: 0
; TotalNumVgprs: 6
; ScratchSize: 0
; MemoryBound: 0
; FloatMode: 240
; IeeeMode: 1
; LDSByteSize: 2112 bytes/workgroup (compile time only)
; SGPRBlocks: 1
; VGPRBlocks: 0
; NumSGPRsForWavesPerEU: 11
; NumVGPRsForWavesPerEU: 6
; AccumOffset: 8
; Occupancy: 8
; WaveLimiterHint : 1
; COMPUTE_PGM_RSRC2:SCRATCH_EN: 0
; COMPUTE_PGM_RSRC2:USER_SGPR: 6
; COMPUTE_PGM_RSRC2:TRAP_HANDLER: 0
; COMPUTE_PGM_RSRC2:TGID_X_EN: 1
; COMPUTE_PGM_RSRC2:TGID_Y_EN: 0
; COMPUTE_PGM_RSRC2:TGID_Z_EN: 0
; COMPUTE_PGM_RSRC2:TIDIG_COMP_CNT: 0
; COMPUTE_PGM_RSRC3_GFX90A:ACCUM_OFFSET: 1
; COMPUTE_PGM_RSRC3_GFX90A:TG_SPLIT: 0
	.section	.text._Z6kernelI18striped_to_blockediLj256ELj3ELj100EEvPKT0_PKjPS1_,"axG",@progbits,_Z6kernelI18striped_to_blockediLj256ELj3ELj100EEvPKT0_PKjPS1_,comdat
	.protected	_Z6kernelI18striped_to_blockediLj256ELj3ELj100EEvPKT0_PKjPS1_ ; -- Begin function _Z6kernelI18striped_to_blockediLj256ELj3ELj100EEvPKT0_PKjPS1_
	.globl	_Z6kernelI18striped_to_blockediLj256ELj3ELj100EEvPKT0_PKjPS1_
	.p2align	8
	.type	_Z6kernelI18striped_to_blockediLj256ELj3ELj100EEvPKT0_PKjPS1_,@function
_Z6kernelI18striped_to_blockediLj256ELj3ELj100EEvPKT0_PKjPS1_: ; @_Z6kernelI18striped_to_blockediLj256ELj3ELj100EEvPKT0_PKjPS1_
; %bb.0:
	s_load_dwordx2 s[2:3], s[4:5], 0x0
	s_mul_i32 s0, s6, 0x300
	s_mov_b32 s1, 0
	s_lshl_b64 s[0:1], s[0:1], 2
	v_lshlrev_b32_e32 v1, 2, v0
	s_waitcnt lgkmcnt(0)
	s_add_u32 s2, s2, s0
	s_addc_u32 s3, s3, s1
	global_load_dword v2, v1, s[2:3]
	global_load_dword v3, v1, s[2:3] offset:1024
	global_load_dword v4, v1, s[2:3] offset:2048
	v_lshlrev_b32_e32 v5, 3, v0
	s_movk_i32 s2, 0x64
	v_add_u32_e32 v5, v1, v5
.LBB32_1:                               ; =>This Inner Loop Header: Depth=1
	s_waitcnt vmcnt(1)
	ds_write2st64_b32 v1, v2, v3 offset1:4
	s_waitcnt vmcnt(0)
	ds_write_b32 v1, v4 offset:2048
	s_waitcnt lgkmcnt(0)
	s_barrier
	ds_read2_b32 v[2:3], v5 offset1:1
	ds_read_b32 v4, v5 offset:8
	s_add_i32 s2, s2, -1
	s_cmp_lg_u32 s2, 0
	s_waitcnt lgkmcnt(0)
	s_barrier
	s_cbranch_scc1 .LBB32_1
; %bb.2:
	s_load_dwordx2 s[2:3], s[4:5], 0x10
	v_mul_u32_u24_e32 v0, 3, v0
	v_lshlrev_b32_e32 v0, 2, v0
	s_waitcnt lgkmcnt(0)
	s_add_u32 s0, s2, s0
	s_addc_u32 s1, s3, s1
	global_store_dwordx3 v0, v[2:4], s[0:1]
	s_endpgm
	.section	.rodata,"a",@progbits
	.p2align	6, 0x0
	.amdhsa_kernel _Z6kernelI18striped_to_blockediLj256ELj3ELj100EEvPKT0_PKjPS1_
		.amdhsa_group_segment_fixed_size 3072
		.amdhsa_private_segment_fixed_size 0
		.amdhsa_kernarg_size 24
		.amdhsa_user_sgpr_count 6
		.amdhsa_user_sgpr_private_segment_buffer 1
		.amdhsa_user_sgpr_dispatch_ptr 0
		.amdhsa_user_sgpr_queue_ptr 0
		.amdhsa_user_sgpr_kernarg_segment_ptr 1
		.amdhsa_user_sgpr_dispatch_id 0
		.amdhsa_user_sgpr_flat_scratch_init 0
		.amdhsa_user_sgpr_kernarg_preload_length 0
		.amdhsa_user_sgpr_kernarg_preload_offset 0
		.amdhsa_user_sgpr_private_segment_size 0
		.amdhsa_uses_dynamic_stack 0
		.amdhsa_system_sgpr_private_segment_wavefront_offset 0
		.amdhsa_system_sgpr_workgroup_id_x 1
		.amdhsa_system_sgpr_workgroup_id_y 0
		.amdhsa_system_sgpr_workgroup_id_z 0
		.amdhsa_system_sgpr_workgroup_info 0
		.amdhsa_system_vgpr_workitem_id 0
		.amdhsa_next_free_vgpr 6
		.amdhsa_next_free_sgpr 7
		.amdhsa_accum_offset 8
		.amdhsa_reserve_vcc 0
		.amdhsa_reserve_flat_scratch 0
		.amdhsa_float_round_mode_32 0
		.amdhsa_float_round_mode_16_64 0
		.amdhsa_float_denorm_mode_32 3
		.amdhsa_float_denorm_mode_16_64 3
		.amdhsa_dx10_clamp 1
		.amdhsa_ieee_mode 1
		.amdhsa_fp16_overflow 0
		.amdhsa_tg_split 0
		.amdhsa_exception_fp_ieee_invalid_op 0
		.amdhsa_exception_fp_denorm_src 0
		.amdhsa_exception_fp_ieee_div_zero 0
		.amdhsa_exception_fp_ieee_overflow 0
		.amdhsa_exception_fp_ieee_underflow 0
		.amdhsa_exception_fp_ieee_inexact 0
		.amdhsa_exception_int_div_zero 0
	.end_amdhsa_kernel
	.section	.text._Z6kernelI18striped_to_blockediLj256ELj3ELj100EEvPKT0_PKjPS1_,"axG",@progbits,_Z6kernelI18striped_to_blockediLj256ELj3ELj100EEvPKT0_PKjPS1_,comdat
.Lfunc_end32:
	.size	_Z6kernelI18striped_to_blockediLj256ELj3ELj100EEvPKT0_PKjPS1_, .Lfunc_end32-_Z6kernelI18striped_to_blockediLj256ELj3ELj100EEvPKT0_PKjPS1_
                                        ; -- End function
	.section	.AMDGPU.csdata,"",@progbits
; Kernel info:
; codeLenInByte = 184
; NumSgprs: 11
; NumVgprs: 6
; NumAgprs: 0
; TotalNumVgprs: 6
; ScratchSize: 0
; MemoryBound: 0
; FloatMode: 240
; IeeeMode: 1
; LDSByteSize: 3072 bytes/workgroup (compile time only)
; SGPRBlocks: 1
; VGPRBlocks: 0
; NumSGPRsForWavesPerEU: 11
; NumVGPRsForWavesPerEU: 6
; AccumOffset: 8
; Occupancy: 8
; WaveLimiterHint : 1
; COMPUTE_PGM_RSRC2:SCRATCH_EN: 0
; COMPUTE_PGM_RSRC2:USER_SGPR: 6
; COMPUTE_PGM_RSRC2:TRAP_HANDLER: 0
; COMPUTE_PGM_RSRC2:TGID_X_EN: 1
; COMPUTE_PGM_RSRC2:TGID_Y_EN: 0
; COMPUTE_PGM_RSRC2:TGID_Z_EN: 0
; COMPUTE_PGM_RSRC2:TIDIG_COMP_CNT: 0
; COMPUTE_PGM_RSRC3_GFX90A:ACCUM_OFFSET: 1
; COMPUTE_PGM_RSRC3_GFX90A:TG_SPLIT: 0
	.section	.text._Z6kernelI18striped_to_blockediLj256ELj4ELj100EEvPKT0_PKjPS1_,"axG",@progbits,_Z6kernelI18striped_to_blockediLj256ELj4ELj100EEvPKT0_PKjPS1_,comdat
	.protected	_Z6kernelI18striped_to_blockediLj256ELj4ELj100EEvPKT0_PKjPS1_ ; -- Begin function _Z6kernelI18striped_to_blockediLj256ELj4ELj100EEvPKT0_PKjPS1_
	.globl	_Z6kernelI18striped_to_blockediLj256ELj4ELj100EEvPKT0_PKjPS1_
	.p2align	8
	.type	_Z6kernelI18striped_to_blockediLj256ELj4ELj100EEvPKT0_PKjPS1_,@function
_Z6kernelI18striped_to_blockediLj256ELj4ELj100EEvPKT0_PKjPS1_: ; @_Z6kernelI18striped_to_blockediLj256ELj4ELj100EEvPKT0_PKjPS1_
; %bb.0:
	s_load_dwordx2 s[2:3], s[4:5], 0x0
	s_lshl_b32 s0, s6, 10
	s_mov_b32 s1, 0
	s_lshl_b64 s[0:1], s[0:1], 2
	v_lshlrev_b32_e32 v1, 2, v0
	s_waitcnt lgkmcnt(0)
	s_add_u32 s2, s2, s0
	s_addc_u32 s3, s3, s1
	global_load_dword v2, v1, s[2:3]
	global_load_dword v3, v1, s[2:3] offset:1024
	global_load_dword v4, v1, s[2:3] offset:2048
	;; [unrolled: 1-line block ×3, first 2 shown]
	v_lshrrev_b32_e32 v9, 3, v0
	v_or_b32_e32 v7, 0x100, v0
	v_or_b32_e32 v8, 0x200, v0
	;; [unrolled: 1-line block ×3, first 2 shown]
	v_lshrrev_b32_e32 v7, 3, v7
	v_lshrrev_b32_e32 v8, 3, v8
	;; [unrolled: 1-line block ×3, first 2 shown]
	v_and_b32_e32 v6, 28, v9
	v_and_b32_e32 v7, 60, v7
	v_and_b32_e32 v8, 0x5c, v8
	v_and_b32_e32 v0, 0x7c, v0
	v_add_u32_e32 v6, v6, v1
	v_add_u32_e32 v7, v7, v1
	;; [unrolled: 1-line block ×4, first 2 shown]
	v_add_lshl_u32 v9, v9, v1, 2
	s_movk_i32 s2, 0x64
.LBB33_1:                               ; =>This Inner Loop Header: Depth=1
	s_waitcnt vmcnt(3)
	ds_write_b32 v6, v2
	s_waitcnt vmcnt(2)
	ds_write_b32 v7, v3 offset:1024
	s_waitcnt vmcnt(1)
	ds_write_b32 v8, v4 offset:2048
	;; [unrolled: 2-line block ×3, first 2 shown]
	s_waitcnt lgkmcnt(0)
	s_barrier
	ds_read2_b32 v[2:3], v9 offset1:1
	ds_read2_b32 v[4:5], v9 offset0:2 offset1:3
	s_add_i32 s2, s2, -1
	s_cmp_lg_u32 s2, 0
	s_waitcnt lgkmcnt(0)
	s_barrier
	s_cbranch_scc1 .LBB33_1
; %bb.2:
	s_load_dwordx2 s[2:3], s[4:5], 0x10
	v_lshlrev_b32_e32 v0, 2, v1
	s_waitcnt lgkmcnt(0)
	s_add_u32 s0, s2, s0
	s_addc_u32 s1, s3, s1
	global_store_dwordx4 v0, v[2:5], s[0:1]
	s_endpgm
	.section	.rodata,"a",@progbits
	.p2align	6, 0x0
	.amdhsa_kernel _Z6kernelI18striped_to_blockediLj256ELj4ELj100EEvPKT0_PKjPS1_
		.amdhsa_group_segment_fixed_size 4224
		.amdhsa_private_segment_fixed_size 0
		.amdhsa_kernarg_size 24
		.amdhsa_user_sgpr_count 6
		.amdhsa_user_sgpr_private_segment_buffer 1
		.amdhsa_user_sgpr_dispatch_ptr 0
		.amdhsa_user_sgpr_queue_ptr 0
		.amdhsa_user_sgpr_kernarg_segment_ptr 1
		.amdhsa_user_sgpr_dispatch_id 0
		.amdhsa_user_sgpr_flat_scratch_init 0
		.amdhsa_user_sgpr_kernarg_preload_length 0
		.amdhsa_user_sgpr_kernarg_preload_offset 0
		.amdhsa_user_sgpr_private_segment_size 0
		.amdhsa_uses_dynamic_stack 0
		.amdhsa_system_sgpr_private_segment_wavefront_offset 0
		.amdhsa_system_sgpr_workgroup_id_x 1
		.amdhsa_system_sgpr_workgroup_id_y 0
		.amdhsa_system_sgpr_workgroup_id_z 0
		.amdhsa_system_sgpr_workgroup_info 0
		.amdhsa_system_vgpr_workitem_id 0
		.amdhsa_next_free_vgpr 10
		.amdhsa_next_free_sgpr 7
		.amdhsa_accum_offset 12
		.amdhsa_reserve_vcc 0
		.amdhsa_reserve_flat_scratch 0
		.amdhsa_float_round_mode_32 0
		.amdhsa_float_round_mode_16_64 0
		.amdhsa_float_denorm_mode_32 3
		.amdhsa_float_denorm_mode_16_64 3
		.amdhsa_dx10_clamp 1
		.amdhsa_ieee_mode 1
		.amdhsa_fp16_overflow 0
		.amdhsa_tg_split 0
		.amdhsa_exception_fp_ieee_invalid_op 0
		.amdhsa_exception_fp_denorm_src 0
		.amdhsa_exception_fp_ieee_div_zero 0
		.amdhsa_exception_fp_ieee_overflow 0
		.amdhsa_exception_fp_ieee_underflow 0
		.amdhsa_exception_fp_ieee_inexact 0
		.amdhsa_exception_int_div_zero 0
	.end_amdhsa_kernel
	.section	.text._Z6kernelI18striped_to_blockediLj256ELj4ELj100EEvPKT0_PKjPS1_,"axG",@progbits,_Z6kernelI18striped_to_blockediLj256ELj4ELj100EEvPKT0_PKjPS1_,comdat
.Lfunc_end33:
	.size	_Z6kernelI18striped_to_blockediLj256ELj4ELj100EEvPKT0_PKjPS1_, .Lfunc_end33-_Z6kernelI18striped_to_blockediLj256ELj4ELj100EEvPKT0_PKjPS1_
                                        ; -- End function
	.section	.AMDGPU.csdata,"",@progbits
; Kernel info:
; codeLenInByte = 288
; NumSgprs: 11
; NumVgprs: 10
; NumAgprs: 0
; TotalNumVgprs: 10
; ScratchSize: 0
; MemoryBound: 0
; FloatMode: 240
; IeeeMode: 1
; LDSByteSize: 4224 bytes/workgroup (compile time only)
; SGPRBlocks: 1
; VGPRBlocks: 1
; NumSGPRsForWavesPerEU: 11
; NumVGPRsForWavesPerEU: 10
; AccumOffset: 12
; Occupancy: 8
; WaveLimiterHint : 1
; COMPUTE_PGM_RSRC2:SCRATCH_EN: 0
; COMPUTE_PGM_RSRC2:USER_SGPR: 6
; COMPUTE_PGM_RSRC2:TRAP_HANDLER: 0
; COMPUTE_PGM_RSRC2:TGID_X_EN: 1
; COMPUTE_PGM_RSRC2:TGID_Y_EN: 0
; COMPUTE_PGM_RSRC2:TGID_Z_EN: 0
; COMPUTE_PGM_RSRC2:TIDIG_COMP_CNT: 0
; COMPUTE_PGM_RSRC3_GFX90A:ACCUM_OFFSET: 2
; COMPUTE_PGM_RSRC3_GFX90A:TG_SPLIT: 0
	.section	.text._Z6kernelI18striped_to_blockediLj256ELj7ELj100EEvPKT0_PKjPS1_,"axG",@progbits,_Z6kernelI18striped_to_blockediLj256ELj7ELj100EEvPKT0_PKjPS1_,comdat
	.protected	_Z6kernelI18striped_to_blockediLj256ELj7ELj100EEvPKT0_PKjPS1_ ; -- Begin function _Z6kernelI18striped_to_blockediLj256ELj7ELj100EEvPKT0_PKjPS1_
	.globl	_Z6kernelI18striped_to_blockediLj256ELj7ELj100EEvPKT0_PKjPS1_
	.p2align	8
	.type	_Z6kernelI18striped_to_blockediLj256ELj7ELj100EEvPKT0_PKjPS1_,@function
_Z6kernelI18striped_to_blockediLj256ELj7ELj100EEvPKT0_PKjPS1_: ; @_Z6kernelI18striped_to_blockediLj256ELj7ELj100EEvPKT0_PKjPS1_
; %bb.0:
	s_load_dwordx2 s[2:3], s[4:5], 0x0
	s_mul_i32 s0, s6, 0x700
	s_mov_b32 s1, 0
	s_lshl_b64 s[0:1], s[0:1], 2
	v_lshlrev_b32_e32 v1, 2, v0
	s_waitcnt lgkmcnt(0)
	s_add_u32 s2, s2, s0
	s_addc_u32 s3, s3, s1
	v_mov_b32_e32 v2, s3
	v_add_co_u32_e32 v3, vcc, s2, v1
	v_addc_co_u32_e32 v2, vcc, 0, v2, vcc
	v_add_co_u32_e32 v10, vcc, 0x1000, v3
	v_addc_co_u32_e32 v11, vcc, 0, v2, vcc
	global_load_dword v2, v1, s[2:3]
	global_load_dword v3, v1, s[2:3] offset:1024
	global_load_dword v4, v1, s[2:3] offset:2048
	;; [unrolled: 1-line block ×3, first 2 shown]
	global_load_dword v6, v[10:11], off
	global_load_dword v7, v[10:11], off offset:1024
	global_load_dword v8, v[10:11], off offset:2048
	v_mul_u32_u24_e32 v9, 24, v0
	s_movk_i32 s2, 0x64
	v_add_u32_e32 v9, v1, v9
.LBB34_1:                               ; =>This Inner Loop Header: Depth=1
	s_waitcnt vmcnt(5)
	ds_write2st64_b32 v1, v2, v3 offset1:4
	s_waitcnt vmcnt(3)
	ds_write2st64_b32 v1, v4, v5 offset0:8 offset1:12
	s_waitcnt vmcnt(1)
	ds_write2st64_b32 v1, v6, v7 offset0:16 offset1:20
	s_waitcnt vmcnt(0)
	ds_write_b32 v1, v8 offset:6144
	s_waitcnt lgkmcnt(0)
	s_barrier
	ds_read2_b32 v[2:3], v9 offset1:1
	ds_read2_b32 v[4:5], v9 offset0:2 offset1:3
	ds_read2_b32 v[6:7], v9 offset0:4 offset1:5
	ds_read_b32 v8, v9 offset:24
	s_add_i32 s2, s2, -1
	s_cmp_lg_u32 s2, 0
	s_waitcnt lgkmcnt(0)
	s_barrier
	s_cbranch_scc1 .LBB34_1
; %bb.2:
	s_load_dwordx2 s[2:3], s[4:5], 0x10
	v_mul_u32_u24_e32 v0, 7, v0
	v_lshlrev_b32_e32 v0, 2, v0
	s_waitcnt lgkmcnt(0)
	s_add_u32 s0, s2, s0
	s_addc_u32 s1, s3, s1
	global_store_dwordx4 v0, v[2:5], s[0:1]
	global_store_dwordx3 v0, v[6:8], s[0:1] offset:16
	s_endpgm
	.section	.rodata,"a",@progbits
	.p2align	6, 0x0
	.amdhsa_kernel _Z6kernelI18striped_to_blockediLj256ELj7ELj100EEvPKT0_PKjPS1_
		.amdhsa_group_segment_fixed_size 7168
		.amdhsa_private_segment_fixed_size 0
		.amdhsa_kernarg_size 24
		.amdhsa_user_sgpr_count 6
		.amdhsa_user_sgpr_private_segment_buffer 1
		.amdhsa_user_sgpr_dispatch_ptr 0
		.amdhsa_user_sgpr_queue_ptr 0
		.amdhsa_user_sgpr_kernarg_segment_ptr 1
		.amdhsa_user_sgpr_dispatch_id 0
		.amdhsa_user_sgpr_flat_scratch_init 0
		.amdhsa_user_sgpr_kernarg_preload_length 0
		.amdhsa_user_sgpr_kernarg_preload_offset 0
		.amdhsa_user_sgpr_private_segment_size 0
		.amdhsa_uses_dynamic_stack 0
		.amdhsa_system_sgpr_private_segment_wavefront_offset 0
		.amdhsa_system_sgpr_workgroup_id_x 1
		.amdhsa_system_sgpr_workgroup_id_y 0
		.amdhsa_system_sgpr_workgroup_id_z 0
		.amdhsa_system_sgpr_workgroup_info 0
		.amdhsa_system_vgpr_workitem_id 0
		.amdhsa_next_free_vgpr 12
		.amdhsa_next_free_sgpr 7
		.amdhsa_accum_offset 12
		.amdhsa_reserve_vcc 1
		.amdhsa_reserve_flat_scratch 0
		.amdhsa_float_round_mode_32 0
		.amdhsa_float_round_mode_16_64 0
		.amdhsa_float_denorm_mode_32 3
		.amdhsa_float_denorm_mode_16_64 3
		.amdhsa_dx10_clamp 1
		.amdhsa_ieee_mode 1
		.amdhsa_fp16_overflow 0
		.amdhsa_tg_split 0
		.amdhsa_exception_fp_ieee_invalid_op 0
		.amdhsa_exception_fp_denorm_src 0
		.amdhsa_exception_fp_ieee_div_zero 0
		.amdhsa_exception_fp_ieee_overflow 0
		.amdhsa_exception_fp_ieee_underflow 0
		.amdhsa_exception_fp_ieee_inexact 0
		.amdhsa_exception_int_div_zero 0
	.end_amdhsa_kernel
	.section	.text._Z6kernelI18striped_to_blockediLj256ELj7ELj100EEvPKT0_PKjPS1_,"axG",@progbits,_Z6kernelI18striped_to_blockediLj256ELj7ELj100EEvPKT0_PKjPS1_,comdat
.Lfunc_end34:
	.size	_Z6kernelI18striped_to_blockediLj256ELj7ELj100EEvPKT0_PKjPS1_, .Lfunc_end34-_Z6kernelI18striped_to_blockediLj256ELj7ELj100EEvPKT0_PKjPS1_
                                        ; -- End function
	.section	.AMDGPU.csdata,"",@progbits
; Kernel info:
; codeLenInByte = 288
; NumSgprs: 11
; NumVgprs: 12
; NumAgprs: 0
; TotalNumVgprs: 12
; ScratchSize: 0
; MemoryBound: 0
; FloatMode: 240
; IeeeMode: 1
; LDSByteSize: 7168 bytes/workgroup (compile time only)
; SGPRBlocks: 1
; VGPRBlocks: 1
; NumSGPRsForWavesPerEU: 11
; NumVGPRsForWavesPerEU: 12
; AccumOffset: 12
; Occupancy: 8
; WaveLimiterHint : 1
; COMPUTE_PGM_RSRC2:SCRATCH_EN: 0
; COMPUTE_PGM_RSRC2:USER_SGPR: 6
; COMPUTE_PGM_RSRC2:TRAP_HANDLER: 0
; COMPUTE_PGM_RSRC2:TGID_X_EN: 1
; COMPUTE_PGM_RSRC2:TGID_Y_EN: 0
; COMPUTE_PGM_RSRC2:TGID_Z_EN: 0
; COMPUTE_PGM_RSRC2:TIDIG_COMP_CNT: 0
; COMPUTE_PGM_RSRC3_GFX90A:ACCUM_OFFSET: 2
; COMPUTE_PGM_RSRC3_GFX90A:TG_SPLIT: 0
	.section	.text._Z6kernelI18striped_to_blockediLj256ELj8ELj100EEvPKT0_PKjPS1_,"axG",@progbits,_Z6kernelI18striped_to_blockediLj256ELj8ELj100EEvPKT0_PKjPS1_,comdat
	.protected	_Z6kernelI18striped_to_blockediLj256ELj8ELj100EEvPKT0_PKjPS1_ ; -- Begin function _Z6kernelI18striped_to_blockediLj256ELj8ELj100EEvPKT0_PKjPS1_
	.globl	_Z6kernelI18striped_to_blockediLj256ELj8ELj100EEvPKT0_PKjPS1_
	.p2align	8
	.type	_Z6kernelI18striped_to_blockediLj256ELj8ELj100EEvPKT0_PKjPS1_,@function
_Z6kernelI18striped_to_blockediLj256ELj8ELj100EEvPKT0_PKjPS1_: ; @_Z6kernelI18striped_to_blockediLj256ELj8ELj100EEvPKT0_PKjPS1_
; %bb.0:
	s_load_dwordx2 s[2:3], s[4:5], 0x0
	s_lshl_b32 s0, s6, 11
	s_mov_b32 s1, 0
	s_lshl_b64 s[0:1], s[0:1], 2
	v_lshlrev_b32_e32 v15, 2, v0
	s_waitcnt lgkmcnt(0)
	s_add_u32 s2, s2, s0
	s_addc_u32 s3, s3, s1
	v_mov_b32_e32 v1, s3
	v_add_co_u32_e32 v2, vcc, s2, v15
	v_addc_co_u32_e32 v1, vcc, 0, v1, vcc
	s_movk_i32 s6, 0x1000
	v_add_co_u32_e32 v10, vcc, s6, v2
	v_addc_co_u32_e32 v11, vcc, 0, v1, vcc
	global_load_dword v6, v15, s[2:3]
	global_load_dword v7, v15, s[2:3] offset:1024
	global_load_dword v8, v15, s[2:3] offset:2048
	;; [unrolled: 1-line block ×3, first 2 shown]
	global_load_dword v2, v[10:11], off
	global_load_dword v3, v[10:11], off offset:1024
	global_load_dword v4, v[10:11], off offset:2048
	;; [unrolled: 1-line block ×3, first 2 shown]
	v_or_b32_e32 v10, 0x100, v0
	v_or_b32_e32 v11, 0x200, v0
	;; [unrolled: 1-line block ×7, first 2 shown]
	v_lshrrev_b32_e32 v1, 3, v0
	v_lshrrev_b32_e32 v10, 3, v10
	;; [unrolled: 1-line block ×8, first 2 shown]
	v_and_b32_e32 v1, 28, v1
	v_and_b32_e32 v10, 60, v10
	;; [unrolled: 1-line block ×8, first 2 shown]
	v_add_u32_e32 v1, v1, v15
	v_add_u32_e32 v10, v10, v15
	;; [unrolled: 1-line block ×8, first 2 shown]
	v_lshlrev_b32_e32 v15, 3, v0
	v_lshrrev_b32_e32 v0, 2, v0
	v_add_lshl_u32 v0, v0, v15, 2
	s_movk_i32 s2, 0x64
.LBB35_1:                               ; =>This Inner Loop Header: Depth=1
	s_waitcnt vmcnt(7)
	ds_write_b32 v1, v6
	s_waitcnt vmcnt(6)
	ds_write_b32 v10, v7 offset:1024
	s_waitcnt vmcnt(5)
	ds_write_b32 v11, v8 offset:2048
	;; [unrolled: 2-line block ×7, first 2 shown]
	s_waitcnt lgkmcnt(0)
	s_barrier
	ds_read2_b32 v[6:7], v0 offset1:1
	ds_read2_b32 v[8:9], v0 offset0:2 offset1:3
	ds_read2_b32 v[2:3], v0 offset0:4 offset1:5
	;; [unrolled: 1-line block ×3, first 2 shown]
	s_add_i32 s2, s2, -1
	s_cmp_lg_u32 s2, 0
	s_waitcnt lgkmcnt(0)
	s_barrier
	s_cbranch_scc1 .LBB35_1
; %bb.2:
	s_load_dwordx2 s[2:3], s[4:5], 0x10
	v_lshlrev_b32_e32 v0, 2, v15
	s_waitcnt lgkmcnt(0)
	s_add_u32 s0, s2, s0
	s_addc_u32 s1, s3, s1
	global_store_dwordx4 v0, v[6:9], s[0:1]
	global_store_dwordx4 v0, v[2:5], s[0:1] offset:16
	s_endpgm
	.section	.rodata,"a",@progbits
	.p2align	6, 0x0
	.amdhsa_kernel _Z6kernelI18striped_to_blockediLj256ELj8ELj100EEvPKT0_PKjPS1_
		.amdhsa_group_segment_fixed_size 8448
		.amdhsa_private_segment_fixed_size 0
		.amdhsa_kernarg_size 24
		.amdhsa_user_sgpr_count 6
		.amdhsa_user_sgpr_private_segment_buffer 1
		.amdhsa_user_sgpr_dispatch_ptr 0
		.amdhsa_user_sgpr_queue_ptr 0
		.amdhsa_user_sgpr_kernarg_segment_ptr 1
		.amdhsa_user_sgpr_dispatch_id 0
		.amdhsa_user_sgpr_flat_scratch_init 0
		.amdhsa_user_sgpr_kernarg_preload_length 0
		.amdhsa_user_sgpr_kernarg_preload_offset 0
		.amdhsa_user_sgpr_private_segment_size 0
		.amdhsa_uses_dynamic_stack 0
		.amdhsa_system_sgpr_private_segment_wavefront_offset 0
		.amdhsa_system_sgpr_workgroup_id_x 1
		.amdhsa_system_sgpr_workgroup_id_y 0
		.amdhsa_system_sgpr_workgroup_id_z 0
		.amdhsa_system_sgpr_workgroup_info 0
		.amdhsa_system_vgpr_workitem_id 0
		.amdhsa_next_free_vgpr 18
		.amdhsa_next_free_sgpr 7
		.amdhsa_accum_offset 20
		.amdhsa_reserve_vcc 1
		.amdhsa_reserve_flat_scratch 0
		.amdhsa_float_round_mode_32 0
		.amdhsa_float_round_mode_16_64 0
		.amdhsa_float_denorm_mode_32 3
		.amdhsa_float_denorm_mode_16_64 3
		.amdhsa_dx10_clamp 1
		.amdhsa_ieee_mode 1
		.amdhsa_fp16_overflow 0
		.amdhsa_tg_split 0
		.amdhsa_exception_fp_ieee_invalid_op 0
		.amdhsa_exception_fp_denorm_src 0
		.amdhsa_exception_fp_ieee_div_zero 0
		.amdhsa_exception_fp_ieee_overflow 0
		.amdhsa_exception_fp_ieee_underflow 0
		.amdhsa_exception_fp_ieee_inexact 0
		.amdhsa_exception_int_div_zero 0
	.end_amdhsa_kernel
	.section	.text._Z6kernelI18striped_to_blockediLj256ELj8ELj100EEvPKT0_PKjPS1_,"axG",@progbits,_Z6kernelI18striped_to_blockediLj256ELj8ELj100EEvPKT0_PKjPS1_,comdat
.Lfunc_end35:
	.size	_Z6kernelI18striped_to_blockediLj256ELj8ELj100EEvPKT0_PKjPS1_, .Lfunc_end35-_Z6kernelI18striped_to_blockediLj256ELj8ELj100EEvPKT0_PKjPS1_
                                        ; -- End function
	.section	.AMDGPU.csdata,"",@progbits
; Kernel info:
; codeLenInByte = 520
; NumSgprs: 11
; NumVgprs: 18
; NumAgprs: 0
; TotalNumVgprs: 18
; ScratchSize: 0
; MemoryBound: 0
; FloatMode: 240
; IeeeMode: 1
; LDSByteSize: 8448 bytes/workgroup (compile time only)
; SGPRBlocks: 1
; VGPRBlocks: 2
; NumSGPRsForWavesPerEU: 11
; NumVGPRsForWavesPerEU: 18
; AccumOffset: 20
; Occupancy: 7
; WaveLimiterHint : 1
; COMPUTE_PGM_RSRC2:SCRATCH_EN: 0
; COMPUTE_PGM_RSRC2:USER_SGPR: 6
; COMPUTE_PGM_RSRC2:TRAP_HANDLER: 0
; COMPUTE_PGM_RSRC2:TGID_X_EN: 1
; COMPUTE_PGM_RSRC2:TGID_Y_EN: 0
; COMPUTE_PGM_RSRC2:TGID_Z_EN: 0
; COMPUTE_PGM_RSRC2:TIDIG_COMP_CNT: 0
; COMPUTE_PGM_RSRC3_GFX90A:ACCUM_OFFSET: 4
; COMPUTE_PGM_RSRC3_GFX90A:TG_SPLIT: 0
	.section	.text._Z6kernelI18striped_to_blockedaLj256ELj1ELj100EEvPKT0_PKjPS1_,"axG",@progbits,_Z6kernelI18striped_to_blockedaLj256ELj1ELj100EEvPKT0_PKjPS1_,comdat
	.protected	_Z6kernelI18striped_to_blockedaLj256ELj1ELj100EEvPKT0_PKjPS1_ ; -- Begin function _Z6kernelI18striped_to_blockedaLj256ELj1ELj100EEvPKT0_PKjPS1_
	.globl	_Z6kernelI18striped_to_blockedaLj256ELj1ELj100EEvPKT0_PKjPS1_
	.p2align	8
	.type	_Z6kernelI18striped_to_blockedaLj256ELj1ELj100EEvPKT0_PKjPS1_,@function
_Z6kernelI18striped_to_blockedaLj256ELj1ELj100EEvPKT0_PKjPS1_: ; @_Z6kernelI18striped_to_blockedaLj256ELj1ELj100EEvPKT0_PKjPS1_
; %bb.0:
	s_load_dwordx2 s[2:3], s[4:5], 0x0
	s_lshl_b32 s0, s6, 8
	s_movk_i32 s1, 0x64
	s_waitcnt lgkmcnt(0)
	s_add_u32 s2, s2, s0
	s_addc_u32 s3, s3, 0
	global_load_ubyte v1, v0, s[2:3]
.LBB36_1:                               ; =>This Inner Loop Header: Depth=1
	s_waitcnt vmcnt(0)
	ds_write_b8 v0, v1
	s_waitcnt lgkmcnt(0)
	s_barrier
	ds_read_u8 v1, v0
	s_add_i32 s1, s1, -1
	s_cmp_lg_u32 s1, 0
	s_waitcnt lgkmcnt(0)
	s_barrier
	s_cbranch_scc1 .LBB36_1
; %bb.2:
	s_load_dwordx2 s[2:3], s[4:5], 0x10
	s_waitcnt lgkmcnt(0)
	s_add_u32 s0, s2, s0
	s_addc_u32 s1, s3, 0
	v_mov_b32_e32 v3, s1
	v_add_co_u32_e32 v2, vcc, s0, v0
	v_addc_co_u32_e32 v3, vcc, 0, v3, vcc
	global_store_byte v[2:3], v1, off
	s_endpgm
	.section	.rodata,"a",@progbits
	.p2align	6, 0x0
	.amdhsa_kernel _Z6kernelI18striped_to_blockedaLj256ELj1ELj100EEvPKT0_PKjPS1_
		.amdhsa_group_segment_fixed_size 256
		.amdhsa_private_segment_fixed_size 0
		.amdhsa_kernarg_size 24
		.amdhsa_user_sgpr_count 6
		.amdhsa_user_sgpr_private_segment_buffer 1
		.amdhsa_user_sgpr_dispatch_ptr 0
		.amdhsa_user_sgpr_queue_ptr 0
		.amdhsa_user_sgpr_kernarg_segment_ptr 1
		.amdhsa_user_sgpr_dispatch_id 0
		.amdhsa_user_sgpr_flat_scratch_init 0
		.amdhsa_user_sgpr_kernarg_preload_length 0
		.amdhsa_user_sgpr_kernarg_preload_offset 0
		.amdhsa_user_sgpr_private_segment_size 0
		.amdhsa_uses_dynamic_stack 0
		.amdhsa_system_sgpr_private_segment_wavefront_offset 0
		.amdhsa_system_sgpr_workgroup_id_x 1
		.amdhsa_system_sgpr_workgroup_id_y 0
		.amdhsa_system_sgpr_workgroup_id_z 0
		.amdhsa_system_sgpr_workgroup_info 0
		.amdhsa_system_vgpr_workitem_id 0
		.amdhsa_next_free_vgpr 4
		.amdhsa_next_free_sgpr 7
		.amdhsa_accum_offset 4
		.amdhsa_reserve_vcc 1
		.amdhsa_reserve_flat_scratch 0
		.amdhsa_float_round_mode_32 0
		.amdhsa_float_round_mode_16_64 0
		.amdhsa_float_denorm_mode_32 3
		.amdhsa_float_denorm_mode_16_64 3
		.amdhsa_dx10_clamp 1
		.amdhsa_ieee_mode 1
		.amdhsa_fp16_overflow 0
		.amdhsa_tg_split 0
		.amdhsa_exception_fp_ieee_invalid_op 0
		.amdhsa_exception_fp_denorm_src 0
		.amdhsa_exception_fp_ieee_div_zero 0
		.amdhsa_exception_fp_ieee_overflow 0
		.amdhsa_exception_fp_ieee_underflow 0
		.amdhsa_exception_fp_ieee_inexact 0
		.amdhsa_exception_int_div_zero 0
	.end_amdhsa_kernel
	.section	.text._Z6kernelI18striped_to_blockedaLj256ELj1ELj100EEvPKT0_PKjPS1_,"axG",@progbits,_Z6kernelI18striped_to_blockedaLj256ELj1ELj100EEvPKT0_PKjPS1_,comdat
.Lfunc_end36:
	.size	_Z6kernelI18striped_to_blockedaLj256ELj1ELj100EEvPKT0_PKjPS1_, .Lfunc_end36-_Z6kernelI18striped_to_blockedaLj256ELj1ELj100EEvPKT0_PKjPS1_
                                        ; -- End function
	.section	.AMDGPU.csdata,"",@progbits
; Kernel info:
; codeLenInByte = 128
; NumSgprs: 11
; NumVgprs: 4
; NumAgprs: 0
; TotalNumVgprs: 4
; ScratchSize: 0
; MemoryBound: 0
; FloatMode: 240
; IeeeMode: 1
; LDSByteSize: 256 bytes/workgroup (compile time only)
; SGPRBlocks: 1
; VGPRBlocks: 0
; NumSGPRsForWavesPerEU: 11
; NumVGPRsForWavesPerEU: 4
; AccumOffset: 4
; Occupancy: 8
; WaveLimiterHint : 0
; COMPUTE_PGM_RSRC2:SCRATCH_EN: 0
; COMPUTE_PGM_RSRC2:USER_SGPR: 6
; COMPUTE_PGM_RSRC2:TRAP_HANDLER: 0
; COMPUTE_PGM_RSRC2:TGID_X_EN: 1
; COMPUTE_PGM_RSRC2:TGID_Y_EN: 0
; COMPUTE_PGM_RSRC2:TGID_Z_EN: 0
; COMPUTE_PGM_RSRC2:TIDIG_COMP_CNT: 0
; COMPUTE_PGM_RSRC3_GFX90A:ACCUM_OFFSET: 0
; COMPUTE_PGM_RSRC3_GFX90A:TG_SPLIT: 0
	.section	.text._Z6kernelI18striped_to_blockedaLj256ELj2ELj100EEvPKT0_PKjPS1_,"axG",@progbits,_Z6kernelI18striped_to_blockedaLj256ELj2ELj100EEvPKT0_PKjPS1_,comdat
	.protected	_Z6kernelI18striped_to_blockedaLj256ELj2ELj100EEvPKT0_PKjPS1_ ; -- Begin function _Z6kernelI18striped_to_blockedaLj256ELj2ELj100EEvPKT0_PKjPS1_
	.globl	_Z6kernelI18striped_to_blockedaLj256ELj2ELj100EEvPKT0_PKjPS1_
	.p2align	8
	.type	_Z6kernelI18striped_to_blockedaLj256ELj2ELj100EEvPKT0_PKjPS1_,@function
_Z6kernelI18striped_to_blockedaLj256ELj2ELj100EEvPKT0_PKjPS1_: ; @_Z6kernelI18striped_to_blockedaLj256ELj2ELj100EEvPKT0_PKjPS1_
; %bb.0:
	s_load_dwordx2 s[2:3], s[4:5], 0x0
	s_lshl_b32 s0, s6, 9
	v_lshrrev_b32_e32 v3, 5, v0
	v_or_b32_e32 v4, 0x100, v0
	v_lshrrev_b32_e32 v6, 4, v0
	s_waitcnt lgkmcnt(0)
	s_add_u32 s2, s2, s0
	s_addc_u32 s3, s3, 0
	global_load_ubyte v2, v0, s[2:3] offset:256
	global_load_ubyte v5, v0, s[2:3]
	v_and_b32_e32 v7, 4, v3
	v_lshrrev_b32_e32 v3, 5, v4
	v_lshlrev_b32_e32 v1, 1, v0
	v_and_b32_e32 v4, 12, v6
	v_and_b32_e32 v6, 12, v3
	s_movk_i32 s1, 0x64
	v_add_u32_e32 v3, v4, v1
	v_add_u32_e32 v4, v7, v0
	;; [unrolled: 1-line block ×3, first 2 shown]
	s_waitcnt vmcnt(1)
	v_lshlrev_b16_e32 v2, 8, v2
	s_waitcnt vmcnt(0)
	v_or_b32_e32 v2, v5, v2
	v_and_b32_e32 v2, 0xffff, v2
.LBB37_1:                               ; =>This Inner Loop Header: Depth=1
	ds_write_b8 v4, v2
	v_lshrrev_b16_e32 v2, 8, v2
	ds_write_b8 v0, v2 offset:256
	s_waitcnt lgkmcnt(0)
	s_barrier
	ds_read_u16 v2, v3
	s_add_i32 s1, s1, -1
	s_cmp_lg_u32 s1, 0
	s_waitcnt lgkmcnt(0)
	s_barrier
	s_cbranch_scc1 .LBB37_1
; %bb.2:
	s_load_dwordx2 s[2:3], s[4:5], 0x10
	v_lshrrev_b16_e32 v0, 8, v2
	v_lshlrev_b16_e32 v0, 8, v0
	v_or_b32_sdwa v0, v2, v0 dst_sel:DWORD dst_unused:UNUSED_PAD src0_sel:BYTE_0 src1_sel:DWORD
	s_waitcnt lgkmcnt(0)
	s_add_u32 s0, s2, s0
	s_addc_u32 s1, s3, 0
	global_store_short v1, v0, s[0:1]
	s_endpgm
	.section	.rodata,"a",@progbits
	.p2align	6, 0x0
	.amdhsa_kernel _Z6kernelI18striped_to_blockedaLj256ELj2ELj100EEvPKT0_PKjPS1_
		.amdhsa_group_segment_fixed_size 528
		.amdhsa_private_segment_fixed_size 0
		.amdhsa_kernarg_size 24
		.amdhsa_user_sgpr_count 6
		.amdhsa_user_sgpr_private_segment_buffer 1
		.amdhsa_user_sgpr_dispatch_ptr 0
		.amdhsa_user_sgpr_queue_ptr 0
		.amdhsa_user_sgpr_kernarg_segment_ptr 1
		.amdhsa_user_sgpr_dispatch_id 0
		.amdhsa_user_sgpr_flat_scratch_init 0
		.amdhsa_user_sgpr_kernarg_preload_length 0
		.amdhsa_user_sgpr_kernarg_preload_offset 0
		.amdhsa_user_sgpr_private_segment_size 0
		.amdhsa_uses_dynamic_stack 0
		.amdhsa_system_sgpr_private_segment_wavefront_offset 0
		.amdhsa_system_sgpr_workgroup_id_x 1
		.amdhsa_system_sgpr_workgroup_id_y 0
		.amdhsa_system_sgpr_workgroup_id_z 0
		.amdhsa_system_sgpr_workgroup_info 0
		.amdhsa_system_vgpr_workitem_id 0
		.amdhsa_next_free_vgpr 8
		.amdhsa_next_free_sgpr 7
		.amdhsa_accum_offset 8
		.amdhsa_reserve_vcc 0
		.amdhsa_reserve_flat_scratch 0
		.amdhsa_float_round_mode_32 0
		.amdhsa_float_round_mode_16_64 0
		.amdhsa_float_denorm_mode_32 3
		.amdhsa_float_denorm_mode_16_64 3
		.amdhsa_dx10_clamp 1
		.amdhsa_ieee_mode 1
		.amdhsa_fp16_overflow 0
		.amdhsa_tg_split 0
		.amdhsa_exception_fp_ieee_invalid_op 0
		.amdhsa_exception_fp_denorm_src 0
		.amdhsa_exception_fp_ieee_div_zero 0
		.amdhsa_exception_fp_ieee_overflow 0
		.amdhsa_exception_fp_ieee_underflow 0
		.amdhsa_exception_fp_ieee_inexact 0
		.amdhsa_exception_int_div_zero 0
	.end_amdhsa_kernel
	.section	.text._Z6kernelI18striped_to_blockedaLj256ELj2ELj100EEvPKT0_PKjPS1_,"axG",@progbits,_Z6kernelI18striped_to_blockedaLj256ELj2ELj100EEvPKT0_PKjPS1_,comdat
.Lfunc_end37:
	.size	_Z6kernelI18striped_to_blockedaLj256ELj2ELj100EEvPKT0_PKjPS1_, .Lfunc_end37-_Z6kernelI18striped_to_blockedaLj256ELj2ELj100EEvPKT0_PKjPS1_
                                        ; -- End function
	.section	.AMDGPU.csdata,"",@progbits
; Kernel info:
; codeLenInByte = 220
; NumSgprs: 11
; NumVgprs: 8
; NumAgprs: 0
; TotalNumVgprs: 8
; ScratchSize: 0
; MemoryBound: 0
; FloatMode: 240
; IeeeMode: 1
; LDSByteSize: 528 bytes/workgroup (compile time only)
; SGPRBlocks: 1
; VGPRBlocks: 0
; NumSGPRsForWavesPerEU: 11
; NumVGPRsForWavesPerEU: 8
; AccumOffset: 8
; Occupancy: 8
; WaveLimiterHint : 1
; COMPUTE_PGM_RSRC2:SCRATCH_EN: 0
; COMPUTE_PGM_RSRC2:USER_SGPR: 6
; COMPUTE_PGM_RSRC2:TRAP_HANDLER: 0
; COMPUTE_PGM_RSRC2:TGID_X_EN: 1
; COMPUTE_PGM_RSRC2:TGID_Y_EN: 0
; COMPUTE_PGM_RSRC2:TGID_Z_EN: 0
; COMPUTE_PGM_RSRC2:TIDIG_COMP_CNT: 0
; COMPUTE_PGM_RSRC3_GFX90A:ACCUM_OFFSET: 1
; COMPUTE_PGM_RSRC3_GFX90A:TG_SPLIT: 0
	.section	.text._Z6kernelI18striped_to_blockedaLj256ELj3ELj100EEvPKT0_PKjPS1_,"axG",@progbits,_Z6kernelI18striped_to_blockedaLj256ELj3ELj100EEvPKT0_PKjPS1_,comdat
	.protected	_Z6kernelI18striped_to_blockedaLj256ELj3ELj100EEvPKT0_PKjPS1_ ; -- Begin function _Z6kernelI18striped_to_blockedaLj256ELj3ELj100EEvPKT0_PKjPS1_
	.globl	_Z6kernelI18striped_to_blockedaLj256ELj3ELj100EEvPKT0_PKjPS1_
	.p2align	8
	.type	_Z6kernelI18striped_to_blockedaLj256ELj3ELj100EEvPKT0_PKjPS1_,@function
_Z6kernelI18striped_to_blockedaLj256ELj3ELj100EEvPKT0_PKjPS1_: ; @_Z6kernelI18striped_to_blockedaLj256ELj3ELj100EEvPKT0_PKjPS1_
; %bb.0:
	s_load_dwordx2 s[2:3], s[4:5], 0x0
	s_mul_i32 s0, s6, 0x300
	v_lshlrev_b32_e32 v5, 1, v0
	s_movk_i32 s1, 0x64
	s_waitcnt lgkmcnt(0)
	s_add_u32 s2, s2, s0
	s_addc_u32 s3, s3, 0
	global_load_ubyte v1, v0, s[2:3] offset:256
	global_load_ubyte v2, v0, s[2:3]
	global_load_ubyte v3, v0, s[2:3] offset:512
	s_waitcnt vmcnt(2)
	v_lshlrev_b16_e32 v1, 8, v1
	s_waitcnt vmcnt(1)
	v_or_b32_e32 v1, v2, v1
	v_and_b32_e32 v1, 0xffff, v1
	s_waitcnt vmcnt(0)
	v_lshl_or_b32 v4, v3, 16, v1
	v_add_u32_e32 v1, v0, v5
.LBB38_1:                               ; =>This Inner Loop Header: Depth=1
	v_lshrrev_b32_e32 v2, 8, v4
	ds_write_b8 v0, v4
	ds_write_b8 v0, v2 offset:256
	ds_write_b8_d16_hi v0, v4 offset:512
	s_waitcnt lgkmcnt(0)
	s_barrier
	ds_read_u8 v3, v1 offset:1
	ds_read_u8 v4, v1
	ds_read_u8 v2, v1 offset:2
	s_add_i32 s1, s1, -1
	s_cmp_lg_u32 s1, 0
	s_waitcnt lgkmcnt(2)
	v_lshlrev_b16_e32 v3, 8, v3
	s_waitcnt lgkmcnt(1)
	v_or_b32_e32 v3, v4, v3
	s_waitcnt lgkmcnt(0)
	v_lshlrev_b32_e32 v4, 16, v2
	v_or_b32_sdwa v4, v3, v4 dst_sel:DWORD dst_unused:UNUSED_PAD src0_sel:WORD_0 src1_sel:DWORD
	s_barrier
	s_cbranch_scc1 .LBB38_1
; %bb.2:
	s_load_dwordx2 s[2:3], s[4:5], 0x10
	v_mul_u32_u24_e32 v0, 3, v0
	s_waitcnt lgkmcnt(0)
	s_add_u32 s0, s2, s0
	s_addc_u32 s1, s3, 0
	global_store_byte v0, v2, s[0:1] offset:2
	global_store_short v0, v3, s[0:1]
	s_endpgm
	.section	.rodata,"a",@progbits
	.p2align	6, 0x0
	.amdhsa_kernel _Z6kernelI18striped_to_blockedaLj256ELj3ELj100EEvPKT0_PKjPS1_
		.amdhsa_group_segment_fixed_size 768
		.amdhsa_private_segment_fixed_size 0
		.amdhsa_kernarg_size 24
		.amdhsa_user_sgpr_count 6
		.amdhsa_user_sgpr_private_segment_buffer 1
		.amdhsa_user_sgpr_dispatch_ptr 0
		.amdhsa_user_sgpr_queue_ptr 0
		.amdhsa_user_sgpr_kernarg_segment_ptr 1
		.amdhsa_user_sgpr_dispatch_id 0
		.amdhsa_user_sgpr_flat_scratch_init 0
		.amdhsa_user_sgpr_kernarg_preload_length 0
		.amdhsa_user_sgpr_kernarg_preload_offset 0
		.amdhsa_user_sgpr_private_segment_size 0
		.amdhsa_uses_dynamic_stack 0
		.amdhsa_system_sgpr_private_segment_wavefront_offset 0
		.amdhsa_system_sgpr_workgroup_id_x 1
		.amdhsa_system_sgpr_workgroup_id_y 0
		.amdhsa_system_sgpr_workgroup_id_z 0
		.amdhsa_system_sgpr_workgroup_info 0
		.amdhsa_system_vgpr_workitem_id 0
		.amdhsa_next_free_vgpr 6
		.amdhsa_next_free_sgpr 7
		.amdhsa_accum_offset 8
		.amdhsa_reserve_vcc 0
		.amdhsa_reserve_flat_scratch 0
		.amdhsa_float_round_mode_32 0
		.amdhsa_float_round_mode_16_64 0
		.amdhsa_float_denorm_mode_32 3
		.amdhsa_float_denorm_mode_16_64 3
		.amdhsa_dx10_clamp 1
		.amdhsa_ieee_mode 1
		.amdhsa_fp16_overflow 0
		.amdhsa_tg_split 0
		.amdhsa_exception_fp_ieee_invalid_op 0
		.amdhsa_exception_fp_denorm_src 0
		.amdhsa_exception_fp_ieee_div_zero 0
		.amdhsa_exception_fp_ieee_overflow 0
		.amdhsa_exception_fp_ieee_underflow 0
		.amdhsa_exception_fp_ieee_inexact 0
		.amdhsa_exception_int_div_zero 0
	.end_amdhsa_kernel
	.section	.text._Z6kernelI18striped_to_blockedaLj256ELj3ELj100EEvPKT0_PKjPS1_,"axG",@progbits,_Z6kernelI18striped_to_blockedaLj256ELj3ELj100EEvPKT0_PKjPS1_,comdat
.Lfunc_end38:
	.size	_Z6kernelI18striped_to_blockedaLj256ELj3ELj100EEvPKT0_PKjPS1_, .Lfunc_end38-_Z6kernelI18striped_to_blockedaLj256ELj3ELj100EEvPKT0_PKjPS1_
                                        ; -- End function
	.section	.AMDGPU.csdata,"",@progbits
; Kernel info:
; codeLenInByte = 252
; NumSgprs: 11
; NumVgprs: 6
; NumAgprs: 0
; TotalNumVgprs: 6
; ScratchSize: 0
; MemoryBound: 0
; FloatMode: 240
; IeeeMode: 1
; LDSByteSize: 768 bytes/workgroup (compile time only)
; SGPRBlocks: 1
; VGPRBlocks: 0
; NumSGPRsForWavesPerEU: 11
; NumVGPRsForWavesPerEU: 6
; AccumOffset: 8
; Occupancy: 8
; WaveLimiterHint : 1
; COMPUTE_PGM_RSRC2:SCRATCH_EN: 0
; COMPUTE_PGM_RSRC2:USER_SGPR: 6
; COMPUTE_PGM_RSRC2:TRAP_HANDLER: 0
; COMPUTE_PGM_RSRC2:TGID_X_EN: 1
; COMPUTE_PGM_RSRC2:TGID_Y_EN: 0
; COMPUTE_PGM_RSRC2:TGID_Z_EN: 0
; COMPUTE_PGM_RSRC2:TIDIG_COMP_CNT: 0
; COMPUTE_PGM_RSRC3_GFX90A:ACCUM_OFFSET: 1
; COMPUTE_PGM_RSRC3_GFX90A:TG_SPLIT: 0
	.section	.text._Z6kernelI18striped_to_blockedaLj256ELj4ELj100EEvPKT0_PKjPS1_,"axG",@progbits,_Z6kernelI18striped_to_blockedaLj256ELj4ELj100EEvPKT0_PKjPS1_,comdat
	.protected	_Z6kernelI18striped_to_blockedaLj256ELj4ELj100EEvPKT0_PKjPS1_ ; -- Begin function _Z6kernelI18striped_to_blockedaLj256ELj4ELj100EEvPKT0_PKjPS1_
	.globl	_Z6kernelI18striped_to_blockedaLj256ELj4ELj100EEvPKT0_PKjPS1_
	.p2align	8
	.type	_Z6kernelI18striped_to_blockedaLj256ELj4ELj100EEvPKT0_PKjPS1_,@function
_Z6kernelI18striped_to_blockedaLj256ELj4ELj100EEvPKT0_PKjPS1_: ; @_Z6kernelI18striped_to_blockedaLj256ELj4ELj100EEvPKT0_PKjPS1_
; %bb.0:
	s_load_dwordx2 s[2:3], s[4:5], 0x0
	s_lshl_b32 s0, s6, 10
	v_lshrrev_b32_e32 v2, 5, v0
	v_or_b32_e32 v3, 0x100, v0
	v_or_b32_e32 v4, 0x200, v0
	s_waitcnt lgkmcnt(0)
	s_add_u32 s2, s2, s0
	s_addc_u32 s3, s3, 0
	global_load_ubyte v6, v0, s[2:3] offset:256
	global_load_ubyte v7, v0, s[2:3] offset:768
	global_load_ubyte v8, v0, s[2:3]
	global_load_ubyte v9, v0, s[2:3] offset:512
	v_or_b32_e32 v5, 0x300, v0
	v_lshrrev_b32_e32 v10, 3, v0
	v_and_b32_e32 v11, 4, v2
	v_lshrrev_b32_e32 v2, 5, v3
	v_lshrrev_b32_e32 v3, 5, v4
	;; [unrolled: 1-line block ×3, first 2 shown]
	v_lshlrev_b32_e32 v1, 2, v0
	v_and_b32_e32 v5, 28, v10
	v_and_b32_e32 v10, 12, v2
	;; [unrolled: 1-line block ×4, first 2 shown]
	s_movk_i32 s1, 0x64
	v_add_u32_e32 v2, v5, v1
	v_add_u32_e32 v3, v11, v0
	;; [unrolled: 1-line block ×5, first 2 shown]
	s_waitcnt vmcnt(3)
	v_lshlrev_b16_e32 v6, 8, v6
	s_waitcnt vmcnt(2)
	v_lshlrev_b16_e32 v7, 8, v7
	s_waitcnt vmcnt(1)
	v_or_b32_e32 v6, v8, v6
	s_waitcnt vmcnt(0)
	v_or_b32_sdwa v7, v9, v7 dst_sel:WORD_1 dst_unused:UNUSED_PAD src0_sel:DWORD src1_sel:DWORD
	v_or_b32_sdwa v6, v6, v7 dst_sel:DWORD dst_unused:UNUSED_PAD src0_sel:WORD_0 src1_sel:DWORD
.LBB39_1:                               ; =>This Inner Loop Header: Depth=1
	v_lshrrev_b32_e32 v7, 8, v6
	ds_write_b8 v3, v6
	ds_write_b8 v4, v7 offset:256
	ds_write_b8_d16_hi v5, v6 offset:512
	v_lshrrev_b32_e32 v6, 24, v6
	ds_write_b8 v0, v6 offset:768
	s_waitcnt lgkmcnt(0)
	s_barrier
	ds_read_b32 v6, v2
	s_add_i32 s1, s1, -1
	s_cmp_lg_u32 s1, 0
	s_waitcnt lgkmcnt(0)
	s_barrier
	s_cbranch_scc1 .LBB39_1
; %bb.2:
	s_load_dwordx2 s[2:3], s[4:5], 0x10
	s_waitcnt lgkmcnt(0)
	s_add_u32 s0, s2, s0
	s_addc_u32 s1, s3, 0
	global_store_dword v1, v6, s[0:1]
	s_endpgm
	.section	.rodata,"a",@progbits
	.p2align	6, 0x0
	.amdhsa_kernel _Z6kernelI18striped_to_blockedaLj256ELj4ELj100EEvPKT0_PKjPS1_
		.amdhsa_group_segment_fixed_size 1056
		.amdhsa_private_segment_fixed_size 0
		.amdhsa_kernarg_size 24
		.amdhsa_user_sgpr_count 6
		.amdhsa_user_sgpr_private_segment_buffer 1
		.amdhsa_user_sgpr_dispatch_ptr 0
		.amdhsa_user_sgpr_queue_ptr 0
		.amdhsa_user_sgpr_kernarg_segment_ptr 1
		.amdhsa_user_sgpr_dispatch_id 0
		.amdhsa_user_sgpr_flat_scratch_init 0
		.amdhsa_user_sgpr_kernarg_preload_length 0
		.amdhsa_user_sgpr_kernarg_preload_offset 0
		.amdhsa_user_sgpr_private_segment_size 0
		.amdhsa_uses_dynamic_stack 0
		.amdhsa_system_sgpr_private_segment_wavefront_offset 0
		.amdhsa_system_sgpr_workgroup_id_x 1
		.amdhsa_system_sgpr_workgroup_id_y 0
		.amdhsa_system_sgpr_workgroup_id_z 0
		.amdhsa_system_sgpr_workgroup_info 0
		.amdhsa_system_vgpr_workitem_id 0
		.amdhsa_next_free_vgpr 14
		.amdhsa_next_free_sgpr 7
		.amdhsa_accum_offset 16
		.amdhsa_reserve_vcc 0
		.amdhsa_reserve_flat_scratch 0
		.amdhsa_float_round_mode_32 0
		.amdhsa_float_round_mode_16_64 0
		.amdhsa_float_denorm_mode_32 3
		.amdhsa_float_denorm_mode_16_64 3
		.amdhsa_dx10_clamp 1
		.amdhsa_ieee_mode 1
		.amdhsa_fp16_overflow 0
		.amdhsa_tg_split 0
		.amdhsa_exception_fp_ieee_invalid_op 0
		.amdhsa_exception_fp_denorm_src 0
		.amdhsa_exception_fp_ieee_div_zero 0
		.amdhsa_exception_fp_ieee_overflow 0
		.amdhsa_exception_fp_ieee_underflow 0
		.amdhsa_exception_fp_ieee_inexact 0
		.amdhsa_exception_int_div_zero 0
	.end_amdhsa_kernel
	.section	.text._Z6kernelI18striped_to_blockedaLj256ELj4ELj100EEvPKT0_PKjPS1_,"axG",@progbits,_Z6kernelI18striped_to_blockedaLj256ELj4ELj100EEvPKT0_PKjPS1_,comdat
.Lfunc_end39:
	.size	_Z6kernelI18striped_to_blockedaLj256ELj4ELj100EEvPKT0_PKjPS1_, .Lfunc_end39-_Z6kernelI18striped_to_blockedaLj256ELj4ELj100EEvPKT0_PKjPS1_
                                        ; -- End function
	.section	.AMDGPU.csdata,"",@progbits
; Kernel info:
; codeLenInByte = 300
; NumSgprs: 11
; NumVgprs: 14
; NumAgprs: 0
; TotalNumVgprs: 14
; ScratchSize: 0
; MemoryBound: 0
; FloatMode: 240
; IeeeMode: 1
; LDSByteSize: 1056 bytes/workgroup (compile time only)
; SGPRBlocks: 1
; VGPRBlocks: 1
; NumSGPRsForWavesPerEU: 11
; NumVGPRsForWavesPerEU: 14
; AccumOffset: 16
; Occupancy: 8
; WaveLimiterHint : 1
; COMPUTE_PGM_RSRC2:SCRATCH_EN: 0
; COMPUTE_PGM_RSRC2:USER_SGPR: 6
; COMPUTE_PGM_RSRC2:TRAP_HANDLER: 0
; COMPUTE_PGM_RSRC2:TGID_X_EN: 1
; COMPUTE_PGM_RSRC2:TGID_Y_EN: 0
; COMPUTE_PGM_RSRC2:TGID_Z_EN: 0
; COMPUTE_PGM_RSRC2:TIDIG_COMP_CNT: 0
; COMPUTE_PGM_RSRC3_GFX90A:ACCUM_OFFSET: 3
; COMPUTE_PGM_RSRC3_GFX90A:TG_SPLIT: 0
	.section	.text._Z6kernelI18striped_to_blockedaLj256ELj7ELj100EEvPKT0_PKjPS1_,"axG",@progbits,_Z6kernelI18striped_to_blockedaLj256ELj7ELj100EEvPKT0_PKjPS1_,comdat
	.protected	_Z6kernelI18striped_to_blockedaLj256ELj7ELj100EEvPKT0_PKjPS1_ ; -- Begin function _Z6kernelI18striped_to_blockedaLj256ELj7ELj100EEvPKT0_PKjPS1_
	.globl	_Z6kernelI18striped_to_blockedaLj256ELj7ELj100EEvPKT0_PKjPS1_
	.p2align	8
	.type	_Z6kernelI18striped_to_blockedaLj256ELj7ELj100EEvPKT0_PKjPS1_,@function
_Z6kernelI18striped_to_blockedaLj256ELj7ELj100EEvPKT0_PKjPS1_: ; @_Z6kernelI18striped_to_blockedaLj256ELj7ELj100EEvPKT0_PKjPS1_
; %bb.0:
	s_load_dwordx2 s[2:3], s[4:5], 0x0
	s_mul_i32 s0, s6, 0x700
	v_mul_u32_u24_e32 v8, 6, v0
	s_movk_i32 s1, 0x64
	s_waitcnt lgkmcnt(0)
	s_add_u32 s2, s2, s0
	s_addc_u32 s3, s3, 0
	global_load_ubyte v4, v0, s[2:3] offset:256
	global_load_ubyte v5, v0, s[2:3] offset:768
	global_load_ubyte v6, v0, s[2:3]
	global_load_ubyte v7, v0, s[2:3] offset:512
	global_load_ubyte v2, v0, s[2:3] offset:1024
	;; [unrolled: 1-line block ×4, first 2 shown]
	s_waitcnt vmcnt(6)
	v_lshlrev_b16_e32 v4, 8, v4
	s_waitcnt vmcnt(5)
	v_lshlrev_b16_e32 v5, 8, v5
	s_waitcnt vmcnt(4)
	v_or_b32_e32 v4, v6, v4
	s_waitcnt vmcnt(3)
	v_or_b32_sdwa v5, v7, v5 dst_sel:WORD_1 dst_unused:UNUSED_PAD src0_sel:DWORD src1_sel:DWORD
	v_or_b32_sdwa v4, v4, v5 dst_sel:DWORD dst_unused:UNUSED_PAD src0_sel:WORD_0 src1_sel:DWORD
	v_add_u32_e32 v5, v0, v8
.LBB40_1:                               ; =>This Inner Loop Header: Depth=1
	v_lshrrev_b32_e32 v6, 8, v4
	ds_write_b8 v0, v4
	ds_write_b8 v0, v6 offset:256
	ds_write_b8_d16_hi v0, v4 offset:512
	v_lshrrev_b32_e32 v4, 24, v4
	ds_write_b8 v0, v4 offset:768
	s_waitcnt vmcnt(2)
	ds_write_b8 v0, v2 offset:1024
	s_waitcnt vmcnt(1)
	;; [unrolled: 2-line block ×3, first 2 shown]
	ds_write_b8 v0, v1 offset:1536
	s_waitcnt lgkmcnt(0)
	s_barrier
	ds_read_b32 v4, v5
	ds_read_u8 v2, v5 offset:4
	ds_read_u8 v3, v5 offset:5
	;; [unrolled: 1-line block ×3, first 2 shown]
	s_add_i32 s1, s1, -1
	s_cmp_lg_u32 s1, 0
	s_waitcnt lgkmcnt(0)
	s_barrier
	s_cbranch_scc1 .LBB40_1
; %bb.2:
	s_load_dwordx2 s[2:3], s[4:5], 0x10
	v_mul_u32_u24_e32 v0, 7, v0
	v_lshlrev_b16_e32 v3, 8, v3
	v_or_b32_sdwa v2, v2, v3 dst_sel:DWORD dst_unused:UNUSED_PAD src0_sel:BYTE_0 src1_sel:DWORD
	s_waitcnt lgkmcnt(0)
	s_add_u32 s0, s2, s0
	s_addc_u32 s1, s3, 0
	global_store_byte v0, v1, s[0:1] offset:6
	global_store_short v0, v2, s[0:1] offset:4
	global_store_dword v0, v4, s[0:1]
	s_endpgm
	.section	.rodata,"a",@progbits
	.p2align	6, 0x0
	.amdhsa_kernel _Z6kernelI18striped_to_blockedaLj256ELj7ELj100EEvPKT0_PKjPS1_
		.amdhsa_group_segment_fixed_size 1792
		.amdhsa_private_segment_fixed_size 0
		.amdhsa_kernarg_size 24
		.amdhsa_user_sgpr_count 6
		.amdhsa_user_sgpr_private_segment_buffer 1
		.amdhsa_user_sgpr_dispatch_ptr 0
		.amdhsa_user_sgpr_queue_ptr 0
		.amdhsa_user_sgpr_kernarg_segment_ptr 1
		.amdhsa_user_sgpr_dispatch_id 0
		.amdhsa_user_sgpr_flat_scratch_init 0
		.amdhsa_user_sgpr_kernarg_preload_length 0
		.amdhsa_user_sgpr_kernarg_preload_offset 0
		.amdhsa_user_sgpr_private_segment_size 0
		.amdhsa_uses_dynamic_stack 0
		.amdhsa_system_sgpr_private_segment_wavefront_offset 0
		.amdhsa_system_sgpr_workgroup_id_x 1
		.amdhsa_system_sgpr_workgroup_id_y 0
		.amdhsa_system_sgpr_workgroup_id_z 0
		.amdhsa_system_sgpr_workgroup_info 0
		.amdhsa_system_vgpr_workitem_id 0
		.amdhsa_next_free_vgpr 9
		.amdhsa_next_free_sgpr 7
		.amdhsa_accum_offset 12
		.amdhsa_reserve_vcc 0
		.amdhsa_reserve_flat_scratch 0
		.amdhsa_float_round_mode_32 0
		.amdhsa_float_round_mode_16_64 0
		.amdhsa_float_denorm_mode_32 3
		.amdhsa_float_denorm_mode_16_64 3
		.amdhsa_dx10_clamp 1
		.amdhsa_ieee_mode 1
		.amdhsa_fp16_overflow 0
		.amdhsa_tg_split 0
		.amdhsa_exception_fp_ieee_invalid_op 0
		.amdhsa_exception_fp_denorm_src 0
		.amdhsa_exception_fp_ieee_div_zero 0
		.amdhsa_exception_fp_ieee_overflow 0
		.amdhsa_exception_fp_ieee_underflow 0
		.amdhsa_exception_fp_ieee_inexact 0
		.amdhsa_exception_int_div_zero 0
	.end_amdhsa_kernel
	.section	.text._Z6kernelI18striped_to_blockedaLj256ELj7ELj100EEvPKT0_PKjPS1_,"axG",@progbits,_Z6kernelI18striped_to_blockedaLj256ELj7ELj100EEvPKT0_PKjPS1_,comdat
.Lfunc_end40:
	.size	_Z6kernelI18striped_to_blockedaLj256ELj7ELj100EEvPKT0_PKjPS1_, .Lfunc_end40-_Z6kernelI18striped_to_blockedaLj256ELj7ELj100EEvPKT0_PKjPS1_
                                        ; -- End function
	.section	.AMDGPU.csdata,"",@progbits
; Kernel info:
; codeLenInByte = 340
; NumSgprs: 11
; NumVgprs: 9
; NumAgprs: 0
; TotalNumVgprs: 9
; ScratchSize: 0
; MemoryBound: 0
; FloatMode: 240
; IeeeMode: 1
; LDSByteSize: 1792 bytes/workgroup (compile time only)
; SGPRBlocks: 1
; VGPRBlocks: 1
; NumSGPRsForWavesPerEU: 11
; NumVGPRsForWavesPerEU: 9
; AccumOffset: 12
; Occupancy: 8
; WaveLimiterHint : 1
; COMPUTE_PGM_RSRC2:SCRATCH_EN: 0
; COMPUTE_PGM_RSRC2:USER_SGPR: 6
; COMPUTE_PGM_RSRC2:TRAP_HANDLER: 0
; COMPUTE_PGM_RSRC2:TGID_X_EN: 1
; COMPUTE_PGM_RSRC2:TGID_Y_EN: 0
; COMPUTE_PGM_RSRC2:TGID_Z_EN: 0
; COMPUTE_PGM_RSRC2:TIDIG_COMP_CNT: 0
; COMPUTE_PGM_RSRC3_GFX90A:ACCUM_OFFSET: 2
; COMPUTE_PGM_RSRC3_GFX90A:TG_SPLIT: 0
	.section	.text._Z6kernelI18striped_to_blockedaLj256ELj8ELj100EEvPKT0_PKjPS1_,"axG",@progbits,_Z6kernelI18striped_to_blockedaLj256ELj8ELj100EEvPKT0_PKjPS1_,comdat
	.protected	_Z6kernelI18striped_to_blockedaLj256ELj8ELj100EEvPKT0_PKjPS1_ ; -- Begin function _Z6kernelI18striped_to_blockedaLj256ELj8ELj100EEvPKT0_PKjPS1_
	.globl	_Z6kernelI18striped_to_blockedaLj256ELj8ELj100EEvPKT0_PKjPS1_
	.p2align	8
	.type	_Z6kernelI18striped_to_blockedaLj256ELj8ELj100EEvPKT0_PKjPS1_,@function
_Z6kernelI18striped_to_blockedaLj256ELj8ELj100EEvPKT0_PKjPS1_: ; @_Z6kernelI18striped_to_blockedaLj256ELj8ELj100EEvPKT0_PKjPS1_
; %bb.0:
	s_load_dwordx2 s[2:3], s[4:5], 0x0
	s_lshl_b32 s0, s6, 11
	v_lshrrev_b32_e32 v4, 5, v0
	v_or_b32_e32 v5, 0x100, v0
	v_or_b32_e32 v6, 0x200, v0
	s_waitcnt lgkmcnt(0)
	s_add_u32 s2, s2, s0
	s_addc_u32 s3, s3, 0
	global_load_ubyte v2, v0, s[2:3] offset:256
	global_load_ubyte v3, v0, s[2:3] offset:768
	;; [unrolled: 1-line block ×4, first 2 shown]
	global_load_ubyte v14, v0, s[2:3]
	global_load_ubyte v15, v0, s[2:3] offset:512
	global_load_ubyte v16, v0, s[2:3] offset:1024
	global_load_ubyte v17, v0, s[2:3] offset:1536
	v_or_b32_e32 v7, 0x300, v0
	v_or_b32_e32 v8, 0x400, v0
	v_or_b32_e32 v9, 0x500, v0
	v_or_b32_e32 v10, 0x600, v0
	v_or_b32_e32 v11, 0x700, v0
	v_lshrrev_b32_e32 v18, 2, v0
	v_and_b32_e32 v19, 4, v4
	v_lshrrev_b32_e32 v4, 5, v5
	v_lshrrev_b32_e32 v5, 5, v6
	;; [unrolled: 1-line block ×7, first 2 shown]
	v_lshlrev_b32_e32 v1, 3, v0
	v_and_b32_e32 v11, 60, v18
	v_and_b32_e32 v18, 12, v4
	;; [unrolled: 1-line block ×8, first 2 shown]
	s_movk_i32 s1, 0x64
	v_add_u32_e32 v4, v11, v1
	v_add_u32_e32 v5, v19, v0
	;; [unrolled: 1-line block ×9, first 2 shown]
	s_waitcnt vmcnt(7)
	v_lshlrev_b16_e32 v2, 8, v2
	s_waitcnt vmcnt(6)
	v_lshlrev_b16_e32 v3, 8, v3
	;; [unrolled: 2-line block ×4, first 2 shown]
	s_waitcnt vmcnt(3)
	v_or_b32_e32 v2, v14, v2
	s_waitcnt vmcnt(2)
	v_or_b32_sdwa v3, v15, v3 dst_sel:WORD_1 dst_unused:UNUSED_PAD src0_sel:DWORD src1_sel:DWORD
	s_waitcnt vmcnt(1)
	v_or_b32_e32 v12, v16, v12
	s_waitcnt vmcnt(0)
	v_or_b32_sdwa v13, v17, v13 dst_sel:WORD_1 dst_unused:UNUSED_PAD src0_sel:DWORD src1_sel:DWORD
	v_or_b32_sdwa v2, v2, v3 dst_sel:DWORD dst_unused:UNUSED_PAD src0_sel:WORD_0 src1_sel:DWORD
	v_or_b32_sdwa v3, v12, v13 dst_sel:DWORD dst_unused:UNUSED_PAD src0_sel:WORD_0 src1_sel:DWORD
.LBB41_1:                               ; =>This Inner Loop Header: Depth=1
	v_lshrrev_b32_e32 v12, 8, v2
	ds_write_b8 v5, v2
	ds_write_b8 v6, v12 offset:256
	ds_write_b8_d16_hi v7, v2 offset:512
	v_lshrrev_b32_e32 v2, 24, v2
	ds_write_b8 v8, v2 offset:768
	ds_write_b8 v9, v3 offset:1024
	v_lshrrev_b32_e32 v2, 8, v3
	ds_write_b8 v10, v2 offset:1280
	ds_write_b8_d16_hi v11, v3 offset:1536
	v_lshrrev_b32_e32 v2, 24, v3
	ds_write_b8 v0, v2 offset:1792
	s_waitcnt lgkmcnt(0)
	s_barrier
	ds_read2_b32 v[2:3], v4 offset1:1
	s_add_i32 s1, s1, -1
	s_cmp_lg_u32 s1, 0
	s_waitcnt lgkmcnt(0)
	s_barrier
	s_cbranch_scc1 .LBB41_1
; %bb.2:
	s_load_dwordx2 s[2:3], s[4:5], 0x10
	s_waitcnt lgkmcnt(0)
	s_add_u32 s0, s2, s0
	s_addc_u32 s1, s3, 0
	global_store_dwordx2 v1, v[2:3], s[0:1]
	s_endpgm
	.section	.rodata,"a",@progbits
	.p2align	6, 0x0
	.amdhsa_kernel _Z6kernelI18striped_to_blockedaLj256ELj8ELj100EEvPKT0_PKjPS1_
		.amdhsa_group_segment_fixed_size 2112
		.amdhsa_private_segment_fixed_size 0
		.amdhsa_kernarg_size 24
		.amdhsa_user_sgpr_count 6
		.amdhsa_user_sgpr_private_segment_buffer 1
		.amdhsa_user_sgpr_dispatch_ptr 0
		.amdhsa_user_sgpr_queue_ptr 0
		.amdhsa_user_sgpr_kernarg_segment_ptr 1
		.amdhsa_user_sgpr_dispatch_id 0
		.amdhsa_user_sgpr_flat_scratch_init 0
		.amdhsa_user_sgpr_kernarg_preload_length 0
		.amdhsa_user_sgpr_kernarg_preload_offset 0
		.amdhsa_user_sgpr_private_segment_size 0
		.amdhsa_uses_dynamic_stack 0
		.amdhsa_system_sgpr_private_segment_wavefront_offset 0
		.amdhsa_system_sgpr_workgroup_id_x 1
		.amdhsa_system_sgpr_workgroup_id_y 0
		.amdhsa_system_sgpr_workgroup_id_z 0
		.amdhsa_system_sgpr_workgroup_info 0
		.amdhsa_system_vgpr_workitem_id 0
		.amdhsa_next_free_vgpr 26
		.amdhsa_next_free_sgpr 7
		.amdhsa_accum_offset 28
		.amdhsa_reserve_vcc 0
		.amdhsa_reserve_flat_scratch 0
		.amdhsa_float_round_mode_32 0
		.amdhsa_float_round_mode_16_64 0
		.amdhsa_float_denorm_mode_32 3
		.amdhsa_float_denorm_mode_16_64 3
		.amdhsa_dx10_clamp 1
		.amdhsa_ieee_mode 1
		.amdhsa_fp16_overflow 0
		.amdhsa_tg_split 0
		.amdhsa_exception_fp_ieee_invalid_op 0
		.amdhsa_exception_fp_denorm_src 0
		.amdhsa_exception_fp_ieee_div_zero 0
		.amdhsa_exception_fp_ieee_overflow 0
		.amdhsa_exception_fp_ieee_underflow 0
		.amdhsa_exception_fp_ieee_inexact 0
		.amdhsa_exception_int_div_zero 0
	.end_amdhsa_kernel
	.section	.text._Z6kernelI18striped_to_blockedaLj256ELj8ELj100EEvPKT0_PKjPS1_,"axG",@progbits,_Z6kernelI18striped_to_blockedaLj256ELj8ELj100EEvPKT0_PKjPS1_,comdat
.Lfunc_end41:
	.size	_Z6kernelI18striped_to_blockedaLj256ELj8ELj100EEvPKT0_PKjPS1_, .Lfunc_end41-_Z6kernelI18striped_to_blockedaLj256ELj8ELj100EEvPKT0_PKjPS1_
                                        ; -- End function
	.section	.AMDGPU.csdata,"",@progbits
; Kernel info:
; codeLenInByte = 496
; NumSgprs: 11
; NumVgprs: 26
; NumAgprs: 0
; TotalNumVgprs: 26
; ScratchSize: 0
; MemoryBound: 0
; FloatMode: 240
; IeeeMode: 1
; LDSByteSize: 2112 bytes/workgroup (compile time only)
; SGPRBlocks: 1
; VGPRBlocks: 3
; NumSGPRsForWavesPerEU: 11
; NumVGPRsForWavesPerEU: 26
; AccumOffset: 28
; Occupancy: 8
; WaveLimiterHint : 1
; COMPUTE_PGM_RSRC2:SCRATCH_EN: 0
; COMPUTE_PGM_RSRC2:USER_SGPR: 6
; COMPUTE_PGM_RSRC2:TRAP_HANDLER: 0
; COMPUTE_PGM_RSRC2:TGID_X_EN: 1
; COMPUTE_PGM_RSRC2:TGID_Y_EN: 0
; COMPUTE_PGM_RSRC2:TGID_Z_EN: 0
; COMPUTE_PGM_RSRC2:TIDIG_COMP_CNT: 0
; COMPUTE_PGM_RSRC3_GFX90A:ACCUM_OFFSET: 6
; COMPUTE_PGM_RSRC3_GFX90A:TG_SPLIT: 0
	.section	.text._Z6kernelI18striped_to_blockedxLj256ELj1ELj100EEvPKT0_PKjPS1_,"axG",@progbits,_Z6kernelI18striped_to_blockedxLj256ELj1ELj100EEvPKT0_PKjPS1_,comdat
	.protected	_Z6kernelI18striped_to_blockedxLj256ELj1ELj100EEvPKT0_PKjPS1_ ; -- Begin function _Z6kernelI18striped_to_blockedxLj256ELj1ELj100EEvPKT0_PKjPS1_
	.globl	_Z6kernelI18striped_to_blockedxLj256ELj1ELj100EEvPKT0_PKjPS1_
	.p2align	8
	.type	_Z6kernelI18striped_to_blockedxLj256ELj1ELj100EEvPKT0_PKjPS1_,@function
_Z6kernelI18striped_to_blockedxLj256ELj1ELj100EEvPKT0_PKjPS1_: ; @_Z6kernelI18striped_to_blockedxLj256ELj1ELj100EEvPKT0_PKjPS1_
; %bb.0:
	s_load_dwordx2 s[2:3], s[4:5], 0x0
	s_lshl_b32 s0, s6, 8
	s_mov_b32 s1, 0
	s_lshl_b64 s[0:1], s[0:1], 3
	v_lshlrev_b32_e32 v1, 3, v0
	s_waitcnt lgkmcnt(0)
	s_add_u32 s2, s2, s0
	s_addc_u32 s3, s3, s1
	global_load_dwordx2 v[2:3], v1, s[2:3]
	s_movk_i32 s2, 0x64
.LBB42_1:                               ; =>This Inner Loop Header: Depth=1
	s_waitcnt vmcnt(0)
	ds_write_b64 v1, v[2:3]
	s_waitcnt lgkmcnt(0)
	s_barrier
	ds_read_b64 v[2:3], v1
	s_add_i32 s2, s2, -1
	s_cmp_lg_u32 s2, 0
	s_waitcnt lgkmcnt(0)
	s_barrier
	s_cbranch_scc1 .LBB42_1
; %bb.2:
	s_load_dwordx2 s[2:3], s[4:5], 0x10
	v_lshlrev_b32_e32 v0, 3, v0
	s_waitcnt lgkmcnt(0)
	s_add_u32 s0, s2, s0
	s_addc_u32 s1, s3, s1
	global_store_dwordx2 v0, v[2:3], s[0:1]
	s_endpgm
	.section	.rodata,"a",@progbits
	.p2align	6, 0x0
	.amdhsa_kernel _Z6kernelI18striped_to_blockedxLj256ELj1ELj100EEvPKT0_PKjPS1_
		.amdhsa_group_segment_fixed_size 2048
		.amdhsa_private_segment_fixed_size 0
		.amdhsa_kernarg_size 24
		.amdhsa_user_sgpr_count 6
		.amdhsa_user_sgpr_private_segment_buffer 1
		.amdhsa_user_sgpr_dispatch_ptr 0
		.amdhsa_user_sgpr_queue_ptr 0
		.amdhsa_user_sgpr_kernarg_segment_ptr 1
		.amdhsa_user_sgpr_dispatch_id 0
		.amdhsa_user_sgpr_flat_scratch_init 0
		.amdhsa_user_sgpr_kernarg_preload_length 0
		.amdhsa_user_sgpr_kernarg_preload_offset 0
		.amdhsa_user_sgpr_private_segment_size 0
		.amdhsa_uses_dynamic_stack 0
		.amdhsa_system_sgpr_private_segment_wavefront_offset 0
		.amdhsa_system_sgpr_workgroup_id_x 1
		.amdhsa_system_sgpr_workgroup_id_y 0
		.amdhsa_system_sgpr_workgroup_id_z 0
		.amdhsa_system_sgpr_workgroup_info 0
		.amdhsa_system_vgpr_workitem_id 0
		.amdhsa_next_free_vgpr 4
		.amdhsa_next_free_sgpr 7
		.amdhsa_accum_offset 4
		.amdhsa_reserve_vcc 0
		.amdhsa_reserve_flat_scratch 0
		.amdhsa_float_round_mode_32 0
		.amdhsa_float_round_mode_16_64 0
		.amdhsa_float_denorm_mode_32 3
		.amdhsa_float_denorm_mode_16_64 3
		.amdhsa_dx10_clamp 1
		.amdhsa_ieee_mode 1
		.amdhsa_fp16_overflow 0
		.amdhsa_tg_split 0
		.amdhsa_exception_fp_ieee_invalid_op 0
		.amdhsa_exception_fp_denorm_src 0
		.amdhsa_exception_fp_ieee_div_zero 0
		.amdhsa_exception_fp_ieee_overflow 0
		.amdhsa_exception_fp_ieee_underflow 0
		.amdhsa_exception_fp_ieee_inexact 0
		.amdhsa_exception_int_div_zero 0
	.end_amdhsa_kernel
	.section	.text._Z6kernelI18striped_to_blockedxLj256ELj1ELj100EEvPKT0_PKjPS1_,"axG",@progbits,_Z6kernelI18striped_to_blockedxLj256ELj1ELj100EEvPKT0_PKjPS1_,comdat
.Lfunc_end42:
	.size	_Z6kernelI18striped_to_blockedxLj256ELj1ELj100EEvPKT0_PKjPS1_, .Lfunc_end42-_Z6kernelI18striped_to_blockedxLj256ELj1ELj100EEvPKT0_PKjPS1_
                                        ; -- End function
	.section	.AMDGPU.csdata,"",@progbits
; Kernel info:
; codeLenInByte = 132
; NumSgprs: 11
; NumVgprs: 4
; NumAgprs: 0
; TotalNumVgprs: 4
; ScratchSize: 0
; MemoryBound: 0
; FloatMode: 240
; IeeeMode: 1
; LDSByteSize: 2048 bytes/workgroup (compile time only)
; SGPRBlocks: 1
; VGPRBlocks: 0
; NumSGPRsForWavesPerEU: 11
; NumVGPRsForWavesPerEU: 4
; AccumOffset: 4
; Occupancy: 8
; WaveLimiterHint : 0
; COMPUTE_PGM_RSRC2:SCRATCH_EN: 0
; COMPUTE_PGM_RSRC2:USER_SGPR: 6
; COMPUTE_PGM_RSRC2:TRAP_HANDLER: 0
; COMPUTE_PGM_RSRC2:TGID_X_EN: 1
; COMPUTE_PGM_RSRC2:TGID_Y_EN: 0
; COMPUTE_PGM_RSRC2:TGID_Z_EN: 0
; COMPUTE_PGM_RSRC2:TIDIG_COMP_CNT: 0
; COMPUTE_PGM_RSRC3_GFX90A:ACCUM_OFFSET: 0
; COMPUTE_PGM_RSRC3_GFX90A:TG_SPLIT: 0
	.section	.text._Z6kernelI18striped_to_blockedxLj256ELj2ELj100EEvPKT0_PKjPS1_,"axG",@progbits,_Z6kernelI18striped_to_blockedxLj256ELj2ELj100EEvPKT0_PKjPS1_,comdat
	.protected	_Z6kernelI18striped_to_blockedxLj256ELj2ELj100EEvPKT0_PKjPS1_ ; -- Begin function _Z6kernelI18striped_to_blockedxLj256ELj2ELj100EEvPKT0_PKjPS1_
	.globl	_Z6kernelI18striped_to_blockedxLj256ELj2ELj100EEvPKT0_PKjPS1_
	.p2align	8
	.type	_Z6kernelI18striped_to_blockedxLj256ELj2ELj100EEvPKT0_PKjPS1_,@function
_Z6kernelI18striped_to_blockedxLj256ELj2ELj100EEvPKT0_PKjPS1_: ; @_Z6kernelI18striped_to_blockedxLj256ELj2ELj100EEvPKT0_PKjPS1_
; %bb.0:
	s_load_dwordx2 s[2:3], s[4:5], 0x0
	s_lshl_b32 s0, s6, 9
	s_mov_b32 s1, 0
	s_lshl_b64 s[0:1], s[0:1], 3
	v_lshlrev_b32_e32 v1, 3, v0
	s_waitcnt lgkmcnt(0)
	s_add_u32 s2, s2, s0
	s_addc_u32 s3, s3, s1
	global_load_dwordx2 v[2:3], v1, s[2:3]
	global_load_dwordx2 v[4:5], v1, s[2:3] offset:2048
	v_or_b32_e32 v7, 0x100, v0
	v_lshrrev_b32_e32 v6, 2, v0
	v_lshrrev_b32_e32 v7, 2, v7
	v_and_b32_e32 v6, 56, v6
	v_and_b32_e32 v7, 0x78, v7
	v_add_u32_e32 v6, v6, v1
	v_add_u32_e32 v7, v7, v1
	v_lshlrev_b32_e32 v1, 1, v0
	v_lshrrev_b32_e32 v0, 4, v0
	v_add_lshl_u32 v0, v0, v1, 3
	s_movk_i32 s2, 0x64
.LBB43_1:                               ; =>This Inner Loop Header: Depth=1
	s_waitcnt vmcnt(1)
	ds_write_b64 v6, v[2:3]
	s_waitcnt vmcnt(0)
	ds_write_b64 v7, v[4:5] offset:2048
	s_waitcnt lgkmcnt(0)
	s_barrier
	ds_read2_b64 v[2:5], v0 offset1:1
	s_add_i32 s2, s2, -1
	s_cmp_lg_u32 s2, 0
	s_waitcnt lgkmcnt(0)
	s_barrier
	s_cbranch_scc1 .LBB43_1
; %bb.2:
	s_load_dwordx2 s[2:3], s[4:5], 0x10
	v_lshlrev_b32_e32 v0, 3, v1
	s_waitcnt lgkmcnt(0)
	s_add_u32 s0, s2, s0
	s_addc_u32 s1, s3, s1
	global_store_dwordx4 v0, v[2:5], s[0:1]
	s_endpgm
	.section	.rodata,"a",@progbits
	.p2align	6, 0x0
	.amdhsa_kernel _Z6kernelI18striped_to_blockedxLj256ELj2ELj100EEvPKT0_PKjPS1_
		.amdhsa_group_segment_fixed_size 4224
		.amdhsa_private_segment_fixed_size 0
		.amdhsa_kernarg_size 24
		.amdhsa_user_sgpr_count 6
		.amdhsa_user_sgpr_private_segment_buffer 1
		.amdhsa_user_sgpr_dispatch_ptr 0
		.amdhsa_user_sgpr_queue_ptr 0
		.amdhsa_user_sgpr_kernarg_segment_ptr 1
		.amdhsa_user_sgpr_dispatch_id 0
		.amdhsa_user_sgpr_flat_scratch_init 0
		.amdhsa_user_sgpr_kernarg_preload_length 0
		.amdhsa_user_sgpr_kernarg_preload_offset 0
		.amdhsa_user_sgpr_private_segment_size 0
		.amdhsa_uses_dynamic_stack 0
		.amdhsa_system_sgpr_private_segment_wavefront_offset 0
		.amdhsa_system_sgpr_workgroup_id_x 1
		.amdhsa_system_sgpr_workgroup_id_y 0
		.amdhsa_system_sgpr_workgroup_id_z 0
		.amdhsa_system_sgpr_workgroup_info 0
		.amdhsa_system_vgpr_workitem_id 0
		.amdhsa_next_free_vgpr 8
		.amdhsa_next_free_sgpr 7
		.amdhsa_accum_offset 8
		.amdhsa_reserve_vcc 0
		.amdhsa_reserve_flat_scratch 0
		.amdhsa_float_round_mode_32 0
		.amdhsa_float_round_mode_16_64 0
		.amdhsa_float_denorm_mode_32 3
		.amdhsa_float_denorm_mode_16_64 3
		.amdhsa_dx10_clamp 1
		.amdhsa_ieee_mode 1
		.amdhsa_fp16_overflow 0
		.amdhsa_tg_split 0
		.amdhsa_exception_fp_ieee_invalid_op 0
		.amdhsa_exception_fp_denorm_src 0
		.amdhsa_exception_fp_ieee_div_zero 0
		.amdhsa_exception_fp_ieee_overflow 0
		.amdhsa_exception_fp_ieee_underflow 0
		.amdhsa_exception_fp_ieee_inexact 0
		.amdhsa_exception_int_div_zero 0
	.end_amdhsa_kernel
	.section	.text._Z6kernelI18striped_to_blockedxLj256ELj2ELj100EEvPKT0_PKjPS1_,"axG",@progbits,_Z6kernelI18striped_to_blockedxLj256ELj2ELj100EEvPKT0_PKjPS1_,comdat
.Lfunc_end43:
	.size	_Z6kernelI18striped_to_blockedxLj256ELj2ELj100EEvPKT0_PKjPS1_, .Lfunc_end43-_Z6kernelI18striped_to_blockedxLj256ELj2ELj100EEvPKT0_PKjPS1_
                                        ; -- End function
	.section	.AMDGPU.csdata,"",@progbits
; Kernel info:
; codeLenInByte = 204
; NumSgprs: 11
; NumVgprs: 8
; NumAgprs: 0
; TotalNumVgprs: 8
; ScratchSize: 0
; MemoryBound: 0
; FloatMode: 240
; IeeeMode: 1
; LDSByteSize: 4224 bytes/workgroup (compile time only)
; SGPRBlocks: 1
; VGPRBlocks: 0
; NumSGPRsForWavesPerEU: 11
; NumVGPRsForWavesPerEU: 8
; AccumOffset: 8
; Occupancy: 8
; WaveLimiterHint : 1
; COMPUTE_PGM_RSRC2:SCRATCH_EN: 0
; COMPUTE_PGM_RSRC2:USER_SGPR: 6
; COMPUTE_PGM_RSRC2:TRAP_HANDLER: 0
; COMPUTE_PGM_RSRC2:TGID_X_EN: 1
; COMPUTE_PGM_RSRC2:TGID_Y_EN: 0
; COMPUTE_PGM_RSRC2:TGID_Z_EN: 0
; COMPUTE_PGM_RSRC2:TIDIG_COMP_CNT: 0
; COMPUTE_PGM_RSRC3_GFX90A:ACCUM_OFFSET: 1
; COMPUTE_PGM_RSRC3_GFX90A:TG_SPLIT: 0
	.section	.text._Z6kernelI18striped_to_blockedxLj256ELj3ELj100EEvPKT0_PKjPS1_,"axG",@progbits,_Z6kernelI18striped_to_blockedxLj256ELj3ELj100EEvPKT0_PKjPS1_,comdat
	.protected	_Z6kernelI18striped_to_blockedxLj256ELj3ELj100EEvPKT0_PKjPS1_ ; -- Begin function _Z6kernelI18striped_to_blockedxLj256ELj3ELj100EEvPKT0_PKjPS1_
	.globl	_Z6kernelI18striped_to_blockedxLj256ELj3ELj100EEvPKT0_PKjPS1_
	.p2align	8
	.type	_Z6kernelI18striped_to_blockedxLj256ELj3ELj100EEvPKT0_PKjPS1_,@function
_Z6kernelI18striped_to_blockedxLj256ELj3ELj100EEvPKT0_PKjPS1_: ; @_Z6kernelI18striped_to_blockedxLj256ELj3ELj100EEvPKT0_PKjPS1_
; %bb.0:
	s_load_dwordx2 s[2:3], s[4:5], 0x0
	s_mul_i32 s0, s6, 0x300
	s_mov_b32 s1, 0
	s_lshl_b64 s[0:1], s[0:1], 3
	v_lshlrev_b32_e32 v1, 3, v0
	s_waitcnt lgkmcnt(0)
	s_add_u32 s2, s2, s0
	s_addc_u32 s3, s3, s1
	v_mov_b32_e32 v2, s3
	v_add_co_u32_e32 v3, vcc, s2, v1
	v_addc_co_u32_e32 v2, vcc, 0, v2, vcc
	v_add_co_u32_e32 v8, vcc, 0x1000, v3
	v_addc_co_u32_e32 v9, vcc, 0, v2, vcc
	global_load_dwordx2 v[2:3], v1, s[2:3]
	global_load_dwordx2 v[4:5], v1, s[2:3] offset:2048
	global_load_dwordx2 v[6:7], v[8:9], off
	v_lshlrev_b32_e32 v8, 4, v0
	s_movk_i32 s2, 0x64
	v_add_u32_e32 v8, v1, v8
.LBB44_1:                               ; =>This Inner Loop Header: Depth=1
	s_waitcnt vmcnt(1)
	ds_write2st64_b64 v1, v[2:3], v[4:5] offset1:4
	s_waitcnt vmcnt(0)
	ds_write_b64 v1, v[6:7] offset:4096
	s_waitcnt lgkmcnt(0)
	s_barrier
	ds_read2_b64 v[2:5], v8 offset1:1
	ds_read_b64 v[6:7], v8 offset:16
	s_add_i32 s2, s2, -1
	s_cmp_lg_u32 s2, 0
	s_waitcnt lgkmcnt(0)
	s_barrier
	s_cbranch_scc1 .LBB44_1
; %bb.2:
	s_load_dwordx2 s[2:3], s[4:5], 0x10
	v_mul_u32_u24_e32 v0, 3, v0
	v_lshlrev_b32_e32 v0, 3, v0
	s_waitcnt lgkmcnt(0)
	s_add_u32 s0, s2, s0
	s_addc_u32 s1, s3, s1
	global_store_dwordx4 v0, v[2:5], s[0:1]
	global_store_dwordx2 v0, v[6:7], s[0:1] offset:16
	s_endpgm
	.section	.rodata,"a",@progbits
	.p2align	6, 0x0
	.amdhsa_kernel _Z6kernelI18striped_to_blockedxLj256ELj3ELj100EEvPKT0_PKjPS1_
		.amdhsa_group_segment_fixed_size 6144
		.amdhsa_private_segment_fixed_size 0
		.amdhsa_kernarg_size 24
		.amdhsa_user_sgpr_count 6
		.amdhsa_user_sgpr_private_segment_buffer 1
		.amdhsa_user_sgpr_dispatch_ptr 0
		.amdhsa_user_sgpr_queue_ptr 0
		.amdhsa_user_sgpr_kernarg_segment_ptr 1
		.amdhsa_user_sgpr_dispatch_id 0
		.amdhsa_user_sgpr_flat_scratch_init 0
		.amdhsa_user_sgpr_kernarg_preload_length 0
		.amdhsa_user_sgpr_kernarg_preload_offset 0
		.amdhsa_user_sgpr_private_segment_size 0
		.amdhsa_uses_dynamic_stack 0
		.amdhsa_system_sgpr_private_segment_wavefront_offset 0
		.amdhsa_system_sgpr_workgroup_id_x 1
		.amdhsa_system_sgpr_workgroup_id_y 0
		.amdhsa_system_sgpr_workgroup_id_z 0
		.amdhsa_system_sgpr_workgroup_info 0
		.amdhsa_system_vgpr_workitem_id 0
		.amdhsa_next_free_vgpr 10
		.amdhsa_next_free_sgpr 7
		.amdhsa_accum_offset 12
		.amdhsa_reserve_vcc 1
		.amdhsa_reserve_flat_scratch 0
		.amdhsa_float_round_mode_32 0
		.amdhsa_float_round_mode_16_64 0
		.amdhsa_float_denorm_mode_32 3
		.amdhsa_float_denorm_mode_16_64 3
		.amdhsa_dx10_clamp 1
		.amdhsa_ieee_mode 1
		.amdhsa_fp16_overflow 0
		.amdhsa_tg_split 0
		.amdhsa_exception_fp_ieee_invalid_op 0
		.amdhsa_exception_fp_denorm_src 0
		.amdhsa_exception_fp_ieee_div_zero 0
		.amdhsa_exception_fp_ieee_overflow 0
		.amdhsa_exception_fp_ieee_underflow 0
		.amdhsa_exception_fp_ieee_inexact 0
		.amdhsa_exception_int_div_zero 0
	.end_amdhsa_kernel
	.section	.text._Z6kernelI18striped_to_blockedxLj256ELj3ELj100EEvPKT0_PKjPS1_,"axG",@progbits,_Z6kernelI18striped_to_blockedxLj256ELj3ELj100EEvPKT0_PKjPS1_,comdat
.Lfunc_end44:
	.size	_Z6kernelI18striped_to_blockedxLj256ELj3ELj100EEvPKT0_PKjPS1_, .Lfunc_end44-_Z6kernelI18striped_to_blockedxLj256ELj3ELj100EEvPKT0_PKjPS1_
                                        ; -- End function
	.section	.AMDGPU.csdata,"",@progbits
; Kernel info:
; codeLenInByte = 216
; NumSgprs: 11
; NumVgprs: 10
; NumAgprs: 0
; TotalNumVgprs: 10
; ScratchSize: 0
; MemoryBound: 0
; FloatMode: 240
; IeeeMode: 1
; LDSByteSize: 6144 bytes/workgroup (compile time only)
; SGPRBlocks: 1
; VGPRBlocks: 1
; NumSGPRsForWavesPerEU: 11
; NumVGPRsForWavesPerEU: 10
; AccumOffset: 12
; Occupancy: 8
; WaveLimiterHint : 1
; COMPUTE_PGM_RSRC2:SCRATCH_EN: 0
; COMPUTE_PGM_RSRC2:USER_SGPR: 6
; COMPUTE_PGM_RSRC2:TRAP_HANDLER: 0
; COMPUTE_PGM_RSRC2:TGID_X_EN: 1
; COMPUTE_PGM_RSRC2:TGID_Y_EN: 0
; COMPUTE_PGM_RSRC2:TGID_Z_EN: 0
; COMPUTE_PGM_RSRC2:TIDIG_COMP_CNT: 0
; COMPUTE_PGM_RSRC3_GFX90A:ACCUM_OFFSET: 2
; COMPUTE_PGM_RSRC3_GFX90A:TG_SPLIT: 0
	.section	.text._Z6kernelI18striped_to_blockedxLj256ELj4ELj100EEvPKT0_PKjPS1_,"axG",@progbits,_Z6kernelI18striped_to_blockedxLj256ELj4ELj100EEvPKT0_PKjPS1_,comdat
	.protected	_Z6kernelI18striped_to_blockedxLj256ELj4ELj100EEvPKT0_PKjPS1_ ; -- Begin function _Z6kernelI18striped_to_blockedxLj256ELj4ELj100EEvPKT0_PKjPS1_
	.globl	_Z6kernelI18striped_to_blockedxLj256ELj4ELj100EEvPKT0_PKjPS1_
	.p2align	8
	.type	_Z6kernelI18striped_to_blockedxLj256ELj4ELj100EEvPKT0_PKjPS1_,@function
_Z6kernelI18striped_to_blockedxLj256ELj4ELj100EEvPKT0_PKjPS1_: ; @_Z6kernelI18striped_to_blockedxLj256ELj4ELj100EEvPKT0_PKjPS1_
; %bb.0:
	s_load_dwordx2 s[2:3], s[4:5], 0x0
	s_lshl_b32 s0, s6, 10
	s_mov_b32 s1, 0
	s_lshl_b64 s[0:1], s[0:1], 3
	v_lshlrev_b32_e32 v13, 3, v0
	s_waitcnt lgkmcnt(0)
	s_add_u32 s2, s2, s0
	s_addc_u32 s3, s3, s1
	v_mov_b32_e32 v1, s3
	v_add_co_u32_e32 v2, vcc, s2, v13
	v_addc_co_u32_e32 v1, vcc, 0, v1, vcc
	s_movk_i32 s6, 0x1000
	v_add_co_u32_e32 v10, vcc, s6, v2
	v_addc_co_u32_e32 v11, vcc, 0, v1, vcc
	global_load_dwordx2 v[2:3], v13, s[2:3]
	global_load_dwordx2 v[4:5], v13, s[2:3] offset:2048
	global_load_dwordx2 v[6:7], v[10:11], off
	global_load_dwordx2 v[8:9], v[10:11], off offset:2048
	v_or_b32_e32 v11, 0x200, v0
	v_lshrrev_b32_e32 v11, 2, v11
	v_and_b32_e32 v11, 0xb8, v11
	v_or_b32_e32 v10, 0x100, v0
	v_add_u32_e32 v12, v11, v13
	v_or_b32_e32 v11, 0x300, v0
	v_lshrrev_b32_e32 v1, 2, v0
	v_lshrrev_b32_e32 v10, 2, v10
	;; [unrolled: 1-line block ×3, first 2 shown]
	v_and_b32_e32 v1, 56, v1
	v_and_b32_e32 v10, 0x78, v10
	;; [unrolled: 1-line block ×3, first 2 shown]
	v_add_u32_e32 v1, v1, v13
	v_add_u32_e32 v10, v10, v13
	;; [unrolled: 1-line block ×3, first 2 shown]
	v_lshlrev_b32_e32 v11, 2, v0
	v_lshrrev_b32_e32 v0, 3, v0
	v_add_lshl_u32 v0, v0, v11, 3
	s_movk_i32 s2, 0x64
.LBB45_1:                               ; =>This Inner Loop Header: Depth=1
	s_waitcnt vmcnt(3)
	ds_write_b64 v1, v[2:3]
	s_waitcnt vmcnt(2)
	ds_write_b64 v10, v[4:5] offset:2048
	s_waitcnt vmcnt(1)
	ds_write_b64 v12, v[6:7] offset:4096
	;; [unrolled: 2-line block ×3, first 2 shown]
	s_waitcnt lgkmcnt(0)
	s_barrier
	ds_read2_b64 v[2:5], v0 offset1:1
	ds_read2_b64 v[6:9], v0 offset0:2 offset1:3
	s_add_i32 s2, s2, -1
	s_cmp_lg_u32 s2, 0
	s_waitcnt lgkmcnt(0)
	s_barrier
	s_cbranch_scc1 .LBB45_1
; %bb.2:
	s_load_dwordx2 s[2:3], s[4:5], 0x10
	v_lshlrev_b32_e32 v0, 3, v11
	s_waitcnt lgkmcnt(0)
	s_add_u32 s0, s2, s0
	s_addc_u32 s1, s3, s1
	global_store_dwordx4 v0, v[2:5], s[0:1]
	global_store_dwordx4 v0, v[6:9], s[0:1] offset:16
	s_endpgm
	.section	.rodata,"a",@progbits
	.p2align	6, 0x0
	.amdhsa_kernel _Z6kernelI18striped_to_blockedxLj256ELj4ELj100EEvPKT0_PKjPS1_
		.amdhsa_group_segment_fixed_size 8448
		.amdhsa_private_segment_fixed_size 0
		.amdhsa_kernarg_size 24
		.amdhsa_user_sgpr_count 6
		.amdhsa_user_sgpr_private_segment_buffer 1
		.amdhsa_user_sgpr_dispatch_ptr 0
		.amdhsa_user_sgpr_queue_ptr 0
		.amdhsa_user_sgpr_kernarg_segment_ptr 1
		.amdhsa_user_sgpr_dispatch_id 0
		.amdhsa_user_sgpr_flat_scratch_init 0
		.amdhsa_user_sgpr_kernarg_preload_length 0
		.amdhsa_user_sgpr_kernarg_preload_offset 0
		.amdhsa_user_sgpr_private_segment_size 0
		.amdhsa_uses_dynamic_stack 0
		.amdhsa_system_sgpr_private_segment_wavefront_offset 0
		.amdhsa_system_sgpr_workgroup_id_x 1
		.amdhsa_system_sgpr_workgroup_id_y 0
		.amdhsa_system_sgpr_workgroup_id_z 0
		.amdhsa_system_sgpr_workgroup_info 0
		.amdhsa_system_vgpr_workitem_id 0
		.amdhsa_next_free_vgpr 14
		.amdhsa_next_free_sgpr 7
		.amdhsa_accum_offset 16
		.amdhsa_reserve_vcc 1
		.amdhsa_reserve_flat_scratch 0
		.amdhsa_float_round_mode_32 0
		.amdhsa_float_round_mode_16_64 0
		.amdhsa_float_denorm_mode_32 3
		.amdhsa_float_denorm_mode_16_64 3
		.amdhsa_dx10_clamp 1
		.amdhsa_ieee_mode 1
		.amdhsa_fp16_overflow 0
		.amdhsa_tg_split 0
		.amdhsa_exception_fp_ieee_invalid_op 0
		.amdhsa_exception_fp_denorm_src 0
		.amdhsa_exception_fp_ieee_div_zero 0
		.amdhsa_exception_fp_ieee_overflow 0
		.amdhsa_exception_fp_ieee_underflow 0
		.amdhsa_exception_fp_ieee_inexact 0
		.amdhsa_exception_int_div_zero 0
	.end_amdhsa_kernel
	.section	.text._Z6kernelI18striped_to_blockedxLj256ELj4ELj100EEvPKT0_PKjPS1_,"axG",@progbits,_Z6kernelI18striped_to_blockedxLj256ELj4ELj100EEvPKT0_PKjPS1_,comdat
.Lfunc_end45:
	.size	_Z6kernelI18striped_to_blockedxLj256ELj4ELj100EEvPKT0_PKjPS1_, .Lfunc_end45-_Z6kernelI18striped_to_blockedxLj256ELj4ELj100EEvPKT0_PKjPS1_
                                        ; -- End function
	.section	.AMDGPU.csdata,"",@progbits
; Kernel info:
; codeLenInByte = 332
; NumSgprs: 11
; NumVgprs: 14
; NumAgprs: 0
; TotalNumVgprs: 14
; ScratchSize: 0
; MemoryBound: 0
; FloatMode: 240
; IeeeMode: 1
; LDSByteSize: 8448 bytes/workgroup (compile time only)
; SGPRBlocks: 1
; VGPRBlocks: 1
; NumSGPRsForWavesPerEU: 11
; NumVGPRsForWavesPerEU: 14
; AccumOffset: 16
; Occupancy: 7
; WaveLimiterHint : 1
; COMPUTE_PGM_RSRC2:SCRATCH_EN: 0
; COMPUTE_PGM_RSRC2:USER_SGPR: 6
; COMPUTE_PGM_RSRC2:TRAP_HANDLER: 0
; COMPUTE_PGM_RSRC2:TGID_X_EN: 1
; COMPUTE_PGM_RSRC2:TGID_Y_EN: 0
; COMPUTE_PGM_RSRC2:TGID_Z_EN: 0
; COMPUTE_PGM_RSRC2:TIDIG_COMP_CNT: 0
; COMPUTE_PGM_RSRC3_GFX90A:ACCUM_OFFSET: 3
; COMPUTE_PGM_RSRC3_GFX90A:TG_SPLIT: 0
	.section	.text._Z6kernelI18striped_to_blockedxLj256ELj7ELj100EEvPKT0_PKjPS1_,"axG",@progbits,_Z6kernelI18striped_to_blockedxLj256ELj7ELj100EEvPKT0_PKjPS1_,comdat
	.protected	_Z6kernelI18striped_to_blockedxLj256ELj7ELj100EEvPKT0_PKjPS1_ ; -- Begin function _Z6kernelI18striped_to_blockedxLj256ELj7ELj100EEvPKT0_PKjPS1_
	.globl	_Z6kernelI18striped_to_blockedxLj256ELj7ELj100EEvPKT0_PKjPS1_
	.p2align	8
	.type	_Z6kernelI18striped_to_blockedxLj256ELj7ELj100EEvPKT0_PKjPS1_,@function
_Z6kernelI18striped_to_blockedxLj256ELj7ELj100EEvPKT0_PKjPS1_: ; @_Z6kernelI18striped_to_blockedxLj256ELj7ELj100EEvPKT0_PKjPS1_
; %bb.0:
	s_load_dwordx2 s[2:3], s[4:5], 0x0
	s_mul_i32 s0, s6, 0x700
	s_mov_b32 s1, 0
	s_lshl_b64 s[0:1], s[0:1], 3
	v_lshlrev_b32_e32 v1, 3, v0
	s_waitcnt lgkmcnt(0)
	s_add_u32 s2, s2, s0
	s_addc_u32 s3, s3, s1
	v_mov_b32_e32 v2, s3
	v_add_co_u32_e32 v12, vcc, s2, v1
	v_addc_co_u32_e32 v13, vcc, 0, v2, vcc
	s_movk_i32 s6, 0x1000
	v_add_co_u32_e32 v10, vcc, s6, v12
	v_addc_co_u32_e32 v11, vcc, 0, v13, vcc
	v_add_co_u32_e32 v16, vcc, 0x2000, v12
	v_addc_co_u32_e32 v17, vcc, 0, v13, vcc
	global_load_dwordx2 v[2:3], v1, s[2:3]
	global_load_dwordx2 v[4:5], v1, s[2:3] offset:2048
	global_load_dwordx2 v[6:7], v[10:11], off
	global_load_dwordx2 v[8:9], v[10:11], off offset:2048
	v_add_co_u32_e32 v18, vcc, 0x3000, v12
	v_addc_co_u32_e32 v19, vcc, 0, v13, vcc
	global_load_dwordx2 v[10:11], v[16:17], off
	global_load_dwordx2 v[12:13], v[16:17], off offset:2048
	global_load_dwordx2 v[14:15], v[18:19], off
	v_mul_u32_u24_e32 v16, 48, v0
	s_movk_i32 s2, 0x64
	v_add_u32_e32 v16, v1, v16
.LBB46_1:                               ; =>This Inner Loop Header: Depth=1
	s_waitcnt vmcnt(5)
	ds_write2st64_b64 v1, v[2:3], v[4:5] offset1:4
	s_waitcnt vmcnt(3)
	ds_write2st64_b64 v1, v[6:7], v[8:9] offset0:8 offset1:12
	s_waitcnt vmcnt(1)
	ds_write2st64_b64 v1, v[10:11], v[12:13] offset0:16 offset1:20
	s_waitcnt vmcnt(0)
	ds_write_b64 v1, v[14:15] offset:12288
	s_waitcnt lgkmcnt(0)
	s_barrier
	ds_read2_b64 v[2:5], v16 offset1:1
	ds_read2_b64 v[6:9], v16 offset0:2 offset1:3
	ds_read2_b64 v[10:13], v16 offset0:4 offset1:5
	ds_read_b64 v[14:15], v16 offset:48
	s_add_i32 s2, s2, -1
	s_cmp_lg_u32 s2, 0
	s_waitcnt lgkmcnt(0)
	s_barrier
	s_cbranch_scc1 .LBB46_1
; %bb.2:
	s_load_dwordx2 s[2:3], s[4:5], 0x10
	v_mul_u32_u24_e32 v0, 7, v0
	v_lshlrev_b32_e32 v0, 3, v0
	s_waitcnt lgkmcnt(0)
	s_add_u32 s0, s2, s0
	s_addc_u32 s1, s3, s1
	global_store_dwordx4 v0, v[2:5], s[0:1]
	global_store_dwordx4 v0, v[6:9], s[0:1] offset:16
	global_store_dwordx4 v0, v[10:13], s[0:1] offset:32
	global_store_dwordx2 v0, v[14:15], s[0:1] offset:48
	s_endpgm
	.section	.rodata,"a",@progbits
	.p2align	6, 0x0
	.amdhsa_kernel _Z6kernelI18striped_to_blockedxLj256ELj7ELj100EEvPKT0_PKjPS1_
		.amdhsa_group_segment_fixed_size 14336
		.amdhsa_private_segment_fixed_size 0
		.amdhsa_kernarg_size 24
		.amdhsa_user_sgpr_count 6
		.amdhsa_user_sgpr_private_segment_buffer 1
		.amdhsa_user_sgpr_dispatch_ptr 0
		.amdhsa_user_sgpr_queue_ptr 0
		.amdhsa_user_sgpr_kernarg_segment_ptr 1
		.amdhsa_user_sgpr_dispatch_id 0
		.amdhsa_user_sgpr_flat_scratch_init 0
		.amdhsa_user_sgpr_kernarg_preload_length 0
		.amdhsa_user_sgpr_kernarg_preload_offset 0
		.amdhsa_user_sgpr_private_segment_size 0
		.amdhsa_uses_dynamic_stack 0
		.amdhsa_system_sgpr_private_segment_wavefront_offset 0
		.amdhsa_system_sgpr_workgroup_id_x 1
		.amdhsa_system_sgpr_workgroup_id_y 0
		.amdhsa_system_sgpr_workgroup_id_z 0
		.amdhsa_system_sgpr_workgroup_info 0
		.amdhsa_system_vgpr_workitem_id 0
		.amdhsa_next_free_vgpr 20
		.amdhsa_next_free_sgpr 7
		.amdhsa_accum_offset 20
		.amdhsa_reserve_vcc 1
		.amdhsa_reserve_flat_scratch 0
		.amdhsa_float_round_mode_32 0
		.amdhsa_float_round_mode_16_64 0
		.amdhsa_float_denorm_mode_32 3
		.amdhsa_float_denorm_mode_16_64 3
		.amdhsa_dx10_clamp 1
		.amdhsa_ieee_mode 1
		.amdhsa_fp16_overflow 0
		.amdhsa_tg_split 0
		.amdhsa_exception_fp_ieee_invalid_op 0
		.amdhsa_exception_fp_denorm_src 0
		.amdhsa_exception_fp_ieee_div_zero 0
		.amdhsa_exception_fp_ieee_overflow 0
		.amdhsa_exception_fp_ieee_underflow 0
		.amdhsa_exception_fp_ieee_inexact 0
		.amdhsa_exception_int_div_zero 0
	.end_amdhsa_kernel
	.section	.text._Z6kernelI18striped_to_blockedxLj256ELj7ELj100EEvPKT0_PKjPS1_,"axG",@progbits,_Z6kernelI18striped_to_blockedxLj256ELj7ELj100EEvPKT0_PKjPS1_,comdat
.Lfunc_end46:
	.size	_Z6kernelI18striped_to_blockedxLj256ELj7ELj100EEvPKT0_PKjPS1_, .Lfunc_end46-_Z6kernelI18striped_to_blockedxLj256ELj7ELj100EEvPKT0_PKjPS1_
                                        ; -- End function
	.section	.AMDGPU.csdata,"",@progbits
; Kernel info:
; codeLenInByte = 328
; NumSgprs: 11
; NumVgprs: 20
; NumAgprs: 0
; TotalNumVgprs: 20
; ScratchSize: 0
; MemoryBound: 1
; FloatMode: 240
; IeeeMode: 1
; LDSByteSize: 14336 bytes/workgroup (compile time only)
; SGPRBlocks: 1
; VGPRBlocks: 2
; NumSGPRsForWavesPerEU: 11
; NumVGPRsForWavesPerEU: 20
; AccumOffset: 20
; Occupancy: 4
; WaveLimiterHint : 1
; COMPUTE_PGM_RSRC2:SCRATCH_EN: 0
; COMPUTE_PGM_RSRC2:USER_SGPR: 6
; COMPUTE_PGM_RSRC2:TRAP_HANDLER: 0
; COMPUTE_PGM_RSRC2:TGID_X_EN: 1
; COMPUTE_PGM_RSRC2:TGID_Y_EN: 0
; COMPUTE_PGM_RSRC2:TGID_Z_EN: 0
; COMPUTE_PGM_RSRC2:TIDIG_COMP_CNT: 0
; COMPUTE_PGM_RSRC3_GFX90A:ACCUM_OFFSET: 4
; COMPUTE_PGM_RSRC3_GFX90A:TG_SPLIT: 0
	.section	.text._Z6kernelI18striped_to_blockedxLj256ELj8ELj100EEvPKT0_PKjPS1_,"axG",@progbits,_Z6kernelI18striped_to_blockedxLj256ELj8ELj100EEvPKT0_PKjPS1_,comdat
	.protected	_Z6kernelI18striped_to_blockedxLj256ELj8ELj100EEvPKT0_PKjPS1_ ; -- Begin function _Z6kernelI18striped_to_blockedxLj256ELj8ELj100EEvPKT0_PKjPS1_
	.globl	_Z6kernelI18striped_to_blockedxLj256ELj8ELj100EEvPKT0_PKjPS1_
	.p2align	8
	.type	_Z6kernelI18striped_to_blockedxLj256ELj8ELj100EEvPKT0_PKjPS1_,@function
_Z6kernelI18striped_to_blockedxLj256ELj8ELj100EEvPKT0_PKjPS1_: ; @_Z6kernelI18striped_to_blockedxLj256ELj8ELj100EEvPKT0_PKjPS1_
; %bb.0:
	s_load_dwordx2 s[2:3], s[4:5], 0x0
	s_lshl_b32 s0, s6, 11
	s_mov_b32 s1, 0
	s_lshl_b64 s[0:1], s[0:1], 3
	v_lshlrev_b32_e32 v1, 3, v0
	s_waitcnt lgkmcnt(0)
	s_add_u32 s2, s2, s0
	s_addc_u32 s3, s3, s1
	v_mov_b32_e32 v2, s3
	v_add_co_u32_e32 v3, vcc, s2, v1
	v_addc_co_u32_e32 v2, vcc, 0, v2, vcc
	s_movk_i32 s6, 0x1000
	v_add_co_u32_e32 v18, vcc, s6, v3
	v_addc_co_u32_e32 v19, vcc, 0, v2, vcc
	s_movk_i32 s6, 0x2000
	v_add_co_u32_e32 v20, vcc, s6, v3
	v_addc_co_u32_e32 v21, vcc, 0, v2, vcc
	s_movk_i32 s6, 0x3000
	v_add_co_u32_e32 v22, vcc, s6, v3
	global_load_dwordx2 v[6:7], v[20:21], off
	global_load_dwordx2 v[8:9], v[20:21], off offset:2048
	v_addc_co_u32_e32 v23, vcc, 0, v2, vcc
	global_load_dwordx2 v[2:3], v1, s[2:3]
	global_load_dwordx2 v[4:5], v1, s[2:3] offset:2048
	global_load_dwordx2 v[12:13], v[18:19], off offset:2048
	global_load_dwordx2 v[14:15], v[22:23], off
	global_load_dwordx2 v[10:11], v[20:21], off offset:-4096
	global_load_dwordx2 v[16:17], v[22:23], off offset:2048
	v_lshrrev_b32_e32 v25, 2, v0
	v_or_b32_e32 v19, 0x100, v0
	v_or_b32_e32 v20, 0x200, v0
	;; [unrolled: 1-line block ×7, first 2 shown]
	v_lshrrev_b32_e32 v19, 2, v19
	v_lshrrev_b32_e32 v20, 2, v20
	;; [unrolled: 1-line block ×7, first 2 shown]
	v_and_b32_e32 v18, 56, v25
	v_and_b32_e32 v19, 0x78, v19
	;; [unrolled: 1-line block ×8, first 2 shown]
	v_add_u32_e32 v18, v18, v1
	v_add_u32_e32 v19, v19, v1
	;; [unrolled: 1-line block ×8, first 2 shown]
	v_add_lshl_u32 v25, v25, v1, 3
	s_movk_i32 s2, 0x64
.LBB47_1:                               ; =>This Inner Loop Header: Depth=1
	s_waitcnt vmcnt(5)
	ds_write_b64 v18, v[2:3]
	s_waitcnt vmcnt(4)
	ds_write_b64 v19, v[4:5] offset:2048
	s_waitcnt vmcnt(1)
	ds_write_b64 v20, v[10:11] offset:4096
	ds_write_b64 v21, v[12:13] offset:6144
	;; [unrolled: 1-line block ×5, first 2 shown]
	s_waitcnt vmcnt(0)
	ds_write_b64 v0, v[16:17] offset:14336
	s_waitcnt lgkmcnt(0)
	s_barrier
	ds_read2_b64 v[2:5], v25 offset1:1
	ds_read2_b64 v[10:13], v25 offset0:2 offset1:3
	ds_read2_b64 v[6:9], v25 offset0:4 offset1:5
	;; [unrolled: 1-line block ×3, first 2 shown]
	s_add_i32 s2, s2, -1
	s_cmp_lg_u32 s2, 0
	s_waitcnt lgkmcnt(0)
	s_barrier
	s_cbranch_scc1 .LBB47_1
; %bb.2:
	s_load_dwordx2 s[2:3], s[4:5], 0x10
	v_lshlrev_b32_e32 v0, 3, v1
	s_waitcnt lgkmcnt(0)
	s_add_u32 s0, s2, s0
	s_addc_u32 s1, s3, s1
	global_store_dwordx4 v0, v[2:5], s[0:1]
	global_store_dwordx4 v0, v[10:13], s[0:1] offset:16
	global_store_dwordx4 v0, v[6:9], s[0:1] offset:32
	;; [unrolled: 1-line block ×3, first 2 shown]
	s_endpgm
	.section	.rodata,"a",@progbits
	.p2align	6, 0x0
	.amdhsa_kernel _Z6kernelI18striped_to_blockedxLj256ELj8ELj100EEvPKT0_PKjPS1_
		.amdhsa_group_segment_fixed_size 16896
		.amdhsa_private_segment_fixed_size 0
		.amdhsa_kernarg_size 24
		.amdhsa_user_sgpr_count 6
		.amdhsa_user_sgpr_private_segment_buffer 1
		.amdhsa_user_sgpr_dispatch_ptr 0
		.amdhsa_user_sgpr_queue_ptr 0
		.amdhsa_user_sgpr_kernarg_segment_ptr 1
		.amdhsa_user_sgpr_dispatch_id 0
		.amdhsa_user_sgpr_flat_scratch_init 0
		.amdhsa_user_sgpr_kernarg_preload_length 0
		.amdhsa_user_sgpr_kernarg_preload_offset 0
		.amdhsa_user_sgpr_private_segment_size 0
		.amdhsa_uses_dynamic_stack 0
		.amdhsa_system_sgpr_private_segment_wavefront_offset 0
		.amdhsa_system_sgpr_workgroup_id_x 1
		.amdhsa_system_sgpr_workgroup_id_y 0
		.amdhsa_system_sgpr_workgroup_id_z 0
		.amdhsa_system_sgpr_workgroup_info 0
		.amdhsa_system_vgpr_workitem_id 0
		.amdhsa_next_free_vgpr 26
		.amdhsa_next_free_sgpr 7
		.amdhsa_accum_offset 28
		.amdhsa_reserve_vcc 1
		.amdhsa_reserve_flat_scratch 0
		.amdhsa_float_round_mode_32 0
		.amdhsa_float_round_mode_16_64 0
		.amdhsa_float_denorm_mode_32 3
		.amdhsa_float_denorm_mode_16_64 3
		.amdhsa_dx10_clamp 1
		.amdhsa_ieee_mode 1
		.amdhsa_fp16_overflow 0
		.amdhsa_tg_split 0
		.amdhsa_exception_fp_ieee_invalid_op 0
		.amdhsa_exception_fp_denorm_src 0
		.amdhsa_exception_fp_ieee_div_zero 0
		.amdhsa_exception_fp_ieee_overflow 0
		.amdhsa_exception_fp_ieee_underflow 0
		.amdhsa_exception_fp_ieee_inexact 0
		.amdhsa_exception_int_div_zero 0
	.end_amdhsa_kernel
	.section	.text._Z6kernelI18striped_to_blockedxLj256ELj8ELj100EEvPKT0_PKjPS1_,"axG",@progbits,_Z6kernelI18striped_to_blockedxLj256ELj8ELj100EEvPKT0_PKjPS1_,comdat
.Lfunc_end47:
	.size	_Z6kernelI18striped_to_blockedxLj256ELj8ELj100EEvPKT0_PKjPS1_, .Lfunc_end47-_Z6kernelI18striped_to_blockedxLj256ELj8ELj100EEvPKT0_PKjPS1_
                                        ; -- End function
	.section	.AMDGPU.csdata,"",@progbits
; Kernel info:
; codeLenInByte = 540
; NumSgprs: 11
; NumVgprs: 26
; NumAgprs: 0
; TotalNumVgprs: 26
; ScratchSize: 0
; MemoryBound: 0
; FloatMode: 240
; IeeeMode: 1
; LDSByteSize: 16896 bytes/workgroup (compile time only)
; SGPRBlocks: 1
; VGPRBlocks: 3
; NumSGPRsForWavesPerEU: 11
; NumVGPRsForWavesPerEU: 26
; AccumOffset: 28
; Occupancy: 3
; WaveLimiterHint : 1
; COMPUTE_PGM_RSRC2:SCRATCH_EN: 0
; COMPUTE_PGM_RSRC2:USER_SGPR: 6
; COMPUTE_PGM_RSRC2:TRAP_HANDLER: 0
; COMPUTE_PGM_RSRC2:TGID_X_EN: 1
; COMPUTE_PGM_RSRC2:TGID_Y_EN: 0
; COMPUTE_PGM_RSRC2:TGID_Z_EN: 0
; COMPUTE_PGM_RSRC2:TIDIG_COMP_CNT: 0
; COMPUTE_PGM_RSRC3_GFX90A:ACCUM_OFFSET: 6
; COMPUTE_PGM_RSRC3_GFX90A:TG_SPLIT: 0
	.section	.text._Z6kernelI18striped_to_blockedN15benchmark_utils11custom_typeIffEELj256ELj1ELj100EEvPKT0_PKjPS4_,"axG",@progbits,_Z6kernelI18striped_to_blockedN15benchmark_utils11custom_typeIffEELj256ELj1ELj100EEvPKT0_PKjPS4_,comdat
	.protected	_Z6kernelI18striped_to_blockedN15benchmark_utils11custom_typeIffEELj256ELj1ELj100EEvPKT0_PKjPS4_ ; -- Begin function _Z6kernelI18striped_to_blockedN15benchmark_utils11custom_typeIffEELj256ELj1ELj100EEvPKT0_PKjPS4_
	.globl	_Z6kernelI18striped_to_blockedN15benchmark_utils11custom_typeIffEELj256ELj1ELj100EEvPKT0_PKjPS4_
	.p2align	8
	.type	_Z6kernelI18striped_to_blockedN15benchmark_utils11custom_typeIffEELj256ELj1ELj100EEvPKT0_PKjPS4_,@function
_Z6kernelI18striped_to_blockedN15benchmark_utils11custom_typeIffEELj256ELj1ELj100EEvPKT0_PKjPS4_: ; @_Z6kernelI18striped_to_blockedN15benchmark_utils11custom_typeIffEELj256ELj1ELj100EEvPKT0_PKjPS4_
; %bb.0:
	s_load_dwordx2 s[2:3], s[4:5], 0x0
	s_lshl_b32 s0, s6, 8
	s_mov_b32 s1, 0
	s_lshl_b64 s[0:1], s[0:1], 3
	v_lshlrev_b32_e32 v1, 3, v0
	s_waitcnt lgkmcnt(0)
	s_add_u32 s2, s2, s0
	s_addc_u32 s3, s3, s1
	global_load_dwordx2 v[2:3], v1, s[2:3]
	s_movk_i32 s2, 0x64
.LBB48_1:                               ; =>This Inner Loop Header: Depth=1
	s_waitcnt vmcnt(0)
	ds_write_b64 v1, v[2:3]
	s_waitcnt lgkmcnt(0)
	s_barrier
	ds_read_b64 v[2:3], v1
	s_add_i32 s2, s2, -1
	s_cmp_lg_u32 s2, 0
	s_waitcnt lgkmcnt(0)
	s_barrier
	s_cbranch_scc1 .LBB48_1
; %bb.2:
	s_load_dwordx2 s[2:3], s[4:5], 0x10
	v_lshlrev_b32_e32 v0, 3, v0
	s_waitcnt lgkmcnt(0)
	s_add_u32 s0, s2, s0
	s_addc_u32 s1, s3, s1
	global_store_dwordx2 v0, v[2:3], s[0:1]
	s_endpgm
	.section	.rodata,"a",@progbits
	.p2align	6, 0x0
	.amdhsa_kernel _Z6kernelI18striped_to_blockedN15benchmark_utils11custom_typeIffEELj256ELj1ELj100EEvPKT0_PKjPS4_
		.amdhsa_group_segment_fixed_size 2048
		.amdhsa_private_segment_fixed_size 0
		.amdhsa_kernarg_size 24
		.amdhsa_user_sgpr_count 6
		.amdhsa_user_sgpr_private_segment_buffer 1
		.amdhsa_user_sgpr_dispatch_ptr 0
		.amdhsa_user_sgpr_queue_ptr 0
		.amdhsa_user_sgpr_kernarg_segment_ptr 1
		.amdhsa_user_sgpr_dispatch_id 0
		.amdhsa_user_sgpr_flat_scratch_init 0
		.amdhsa_user_sgpr_kernarg_preload_length 0
		.amdhsa_user_sgpr_kernarg_preload_offset 0
		.amdhsa_user_sgpr_private_segment_size 0
		.amdhsa_uses_dynamic_stack 0
		.amdhsa_system_sgpr_private_segment_wavefront_offset 0
		.amdhsa_system_sgpr_workgroup_id_x 1
		.amdhsa_system_sgpr_workgroup_id_y 0
		.amdhsa_system_sgpr_workgroup_id_z 0
		.amdhsa_system_sgpr_workgroup_info 0
		.amdhsa_system_vgpr_workitem_id 0
		.amdhsa_next_free_vgpr 4
		.amdhsa_next_free_sgpr 7
		.amdhsa_accum_offset 4
		.amdhsa_reserve_vcc 0
		.amdhsa_reserve_flat_scratch 0
		.amdhsa_float_round_mode_32 0
		.amdhsa_float_round_mode_16_64 0
		.amdhsa_float_denorm_mode_32 3
		.amdhsa_float_denorm_mode_16_64 3
		.amdhsa_dx10_clamp 1
		.amdhsa_ieee_mode 1
		.amdhsa_fp16_overflow 0
		.amdhsa_tg_split 0
		.amdhsa_exception_fp_ieee_invalid_op 0
		.amdhsa_exception_fp_denorm_src 0
		.amdhsa_exception_fp_ieee_div_zero 0
		.amdhsa_exception_fp_ieee_overflow 0
		.amdhsa_exception_fp_ieee_underflow 0
		.amdhsa_exception_fp_ieee_inexact 0
		.amdhsa_exception_int_div_zero 0
	.end_amdhsa_kernel
	.section	.text._Z6kernelI18striped_to_blockedN15benchmark_utils11custom_typeIffEELj256ELj1ELj100EEvPKT0_PKjPS4_,"axG",@progbits,_Z6kernelI18striped_to_blockedN15benchmark_utils11custom_typeIffEELj256ELj1ELj100EEvPKT0_PKjPS4_,comdat
.Lfunc_end48:
	.size	_Z6kernelI18striped_to_blockedN15benchmark_utils11custom_typeIffEELj256ELj1ELj100EEvPKT0_PKjPS4_, .Lfunc_end48-_Z6kernelI18striped_to_blockedN15benchmark_utils11custom_typeIffEELj256ELj1ELj100EEvPKT0_PKjPS4_
                                        ; -- End function
	.section	.AMDGPU.csdata,"",@progbits
; Kernel info:
; codeLenInByte = 132
; NumSgprs: 11
; NumVgprs: 4
; NumAgprs: 0
; TotalNumVgprs: 4
; ScratchSize: 0
; MemoryBound: 0
; FloatMode: 240
; IeeeMode: 1
; LDSByteSize: 2048 bytes/workgroup (compile time only)
; SGPRBlocks: 1
; VGPRBlocks: 0
; NumSGPRsForWavesPerEU: 11
; NumVGPRsForWavesPerEU: 4
; AccumOffset: 4
; Occupancy: 8
; WaveLimiterHint : 0
; COMPUTE_PGM_RSRC2:SCRATCH_EN: 0
; COMPUTE_PGM_RSRC2:USER_SGPR: 6
; COMPUTE_PGM_RSRC2:TRAP_HANDLER: 0
; COMPUTE_PGM_RSRC2:TGID_X_EN: 1
; COMPUTE_PGM_RSRC2:TGID_Y_EN: 0
; COMPUTE_PGM_RSRC2:TGID_Z_EN: 0
; COMPUTE_PGM_RSRC2:TIDIG_COMP_CNT: 0
; COMPUTE_PGM_RSRC3_GFX90A:ACCUM_OFFSET: 0
; COMPUTE_PGM_RSRC3_GFX90A:TG_SPLIT: 0
	.section	.text._Z6kernelI18striped_to_blockedN15benchmark_utils11custom_typeIffEELj256ELj2ELj100EEvPKT0_PKjPS4_,"axG",@progbits,_Z6kernelI18striped_to_blockedN15benchmark_utils11custom_typeIffEELj256ELj2ELj100EEvPKT0_PKjPS4_,comdat
	.protected	_Z6kernelI18striped_to_blockedN15benchmark_utils11custom_typeIffEELj256ELj2ELj100EEvPKT0_PKjPS4_ ; -- Begin function _Z6kernelI18striped_to_blockedN15benchmark_utils11custom_typeIffEELj256ELj2ELj100EEvPKT0_PKjPS4_
	.globl	_Z6kernelI18striped_to_blockedN15benchmark_utils11custom_typeIffEELj256ELj2ELj100EEvPKT0_PKjPS4_
	.p2align	8
	.type	_Z6kernelI18striped_to_blockedN15benchmark_utils11custom_typeIffEELj256ELj2ELj100EEvPKT0_PKjPS4_,@function
_Z6kernelI18striped_to_blockedN15benchmark_utils11custom_typeIffEELj256ELj2ELj100EEvPKT0_PKjPS4_: ; @_Z6kernelI18striped_to_blockedN15benchmark_utils11custom_typeIffEELj256ELj2ELj100EEvPKT0_PKjPS4_
; %bb.0:
	s_load_dwordx2 s[2:3], s[4:5], 0x0
	s_lshl_b32 s0, s6, 9
	s_mov_b32 s1, 0
	s_lshl_b64 s[0:1], s[0:1], 3
	v_lshlrev_b32_e32 v1, 3, v0
	s_waitcnt lgkmcnt(0)
	s_add_u32 s2, s2, s0
	s_addc_u32 s3, s3, s1
	global_load_dwordx2 v[2:3], v1, s[2:3]
	global_load_dwordx2 v[4:5], v1, s[2:3] offset:2048
	v_or_b32_e32 v7, 0x100, v0
	v_lshrrev_b32_e32 v6, 2, v0
	v_lshrrev_b32_e32 v7, 2, v7
	v_and_b32_e32 v6, 56, v6
	v_and_b32_e32 v7, 0x78, v7
	v_add_u32_e32 v6, v6, v1
	v_add_u32_e32 v7, v7, v1
	v_lshlrev_b32_e32 v1, 1, v0
	v_lshrrev_b32_e32 v0, 4, v0
	v_add_lshl_u32 v0, v0, v1, 3
	s_movk_i32 s2, 0x64
.LBB49_1:                               ; =>This Inner Loop Header: Depth=1
	s_waitcnt vmcnt(1)
	ds_write_b64 v6, v[2:3]
	s_waitcnt vmcnt(0)
	ds_write_b64 v7, v[4:5] offset:2048
	s_waitcnt lgkmcnt(0)
	s_barrier
	ds_read2_b64 v[2:5], v0 offset1:1
	s_add_i32 s2, s2, -1
	s_cmp_lg_u32 s2, 0
	s_waitcnt lgkmcnt(0)
	s_barrier
	s_cbranch_scc1 .LBB49_1
; %bb.2:
	s_load_dwordx2 s[2:3], s[4:5], 0x10
	v_lshlrev_b32_e32 v0, 3, v1
	s_waitcnt lgkmcnt(0)
	s_add_u32 s0, s2, s0
	s_addc_u32 s1, s3, s1
	global_store_dwordx4 v0, v[2:5], s[0:1]
	s_endpgm
	.section	.rodata,"a",@progbits
	.p2align	6, 0x0
	.amdhsa_kernel _Z6kernelI18striped_to_blockedN15benchmark_utils11custom_typeIffEELj256ELj2ELj100EEvPKT0_PKjPS4_
		.amdhsa_group_segment_fixed_size 4224
		.amdhsa_private_segment_fixed_size 0
		.amdhsa_kernarg_size 24
		.amdhsa_user_sgpr_count 6
		.amdhsa_user_sgpr_private_segment_buffer 1
		.amdhsa_user_sgpr_dispatch_ptr 0
		.amdhsa_user_sgpr_queue_ptr 0
		.amdhsa_user_sgpr_kernarg_segment_ptr 1
		.amdhsa_user_sgpr_dispatch_id 0
		.amdhsa_user_sgpr_flat_scratch_init 0
		.amdhsa_user_sgpr_kernarg_preload_length 0
		.amdhsa_user_sgpr_kernarg_preload_offset 0
		.amdhsa_user_sgpr_private_segment_size 0
		.amdhsa_uses_dynamic_stack 0
		.amdhsa_system_sgpr_private_segment_wavefront_offset 0
		.amdhsa_system_sgpr_workgroup_id_x 1
		.amdhsa_system_sgpr_workgroup_id_y 0
		.amdhsa_system_sgpr_workgroup_id_z 0
		.amdhsa_system_sgpr_workgroup_info 0
		.amdhsa_system_vgpr_workitem_id 0
		.amdhsa_next_free_vgpr 8
		.amdhsa_next_free_sgpr 7
		.amdhsa_accum_offset 8
		.amdhsa_reserve_vcc 0
		.amdhsa_reserve_flat_scratch 0
		.amdhsa_float_round_mode_32 0
		.amdhsa_float_round_mode_16_64 0
		.amdhsa_float_denorm_mode_32 3
		.amdhsa_float_denorm_mode_16_64 3
		.amdhsa_dx10_clamp 1
		.amdhsa_ieee_mode 1
		.amdhsa_fp16_overflow 0
		.amdhsa_tg_split 0
		.amdhsa_exception_fp_ieee_invalid_op 0
		.amdhsa_exception_fp_denorm_src 0
		.amdhsa_exception_fp_ieee_div_zero 0
		.amdhsa_exception_fp_ieee_overflow 0
		.amdhsa_exception_fp_ieee_underflow 0
		.amdhsa_exception_fp_ieee_inexact 0
		.amdhsa_exception_int_div_zero 0
	.end_amdhsa_kernel
	.section	.text._Z6kernelI18striped_to_blockedN15benchmark_utils11custom_typeIffEELj256ELj2ELj100EEvPKT0_PKjPS4_,"axG",@progbits,_Z6kernelI18striped_to_blockedN15benchmark_utils11custom_typeIffEELj256ELj2ELj100EEvPKT0_PKjPS4_,comdat
.Lfunc_end49:
	.size	_Z6kernelI18striped_to_blockedN15benchmark_utils11custom_typeIffEELj256ELj2ELj100EEvPKT0_PKjPS4_, .Lfunc_end49-_Z6kernelI18striped_to_blockedN15benchmark_utils11custom_typeIffEELj256ELj2ELj100EEvPKT0_PKjPS4_
                                        ; -- End function
	.section	.AMDGPU.csdata,"",@progbits
; Kernel info:
; codeLenInByte = 204
; NumSgprs: 11
; NumVgprs: 8
; NumAgprs: 0
; TotalNumVgprs: 8
; ScratchSize: 0
; MemoryBound: 0
; FloatMode: 240
; IeeeMode: 1
; LDSByteSize: 4224 bytes/workgroup (compile time only)
; SGPRBlocks: 1
; VGPRBlocks: 0
; NumSGPRsForWavesPerEU: 11
; NumVGPRsForWavesPerEU: 8
; AccumOffset: 8
; Occupancy: 8
; WaveLimiterHint : 1
; COMPUTE_PGM_RSRC2:SCRATCH_EN: 0
; COMPUTE_PGM_RSRC2:USER_SGPR: 6
; COMPUTE_PGM_RSRC2:TRAP_HANDLER: 0
; COMPUTE_PGM_RSRC2:TGID_X_EN: 1
; COMPUTE_PGM_RSRC2:TGID_Y_EN: 0
; COMPUTE_PGM_RSRC2:TGID_Z_EN: 0
; COMPUTE_PGM_RSRC2:TIDIG_COMP_CNT: 0
; COMPUTE_PGM_RSRC3_GFX90A:ACCUM_OFFSET: 1
; COMPUTE_PGM_RSRC3_GFX90A:TG_SPLIT: 0
	.section	.text._Z6kernelI18striped_to_blockedN15benchmark_utils11custom_typeIffEELj256ELj3ELj100EEvPKT0_PKjPS4_,"axG",@progbits,_Z6kernelI18striped_to_blockedN15benchmark_utils11custom_typeIffEELj256ELj3ELj100EEvPKT0_PKjPS4_,comdat
	.protected	_Z6kernelI18striped_to_blockedN15benchmark_utils11custom_typeIffEELj256ELj3ELj100EEvPKT0_PKjPS4_ ; -- Begin function _Z6kernelI18striped_to_blockedN15benchmark_utils11custom_typeIffEELj256ELj3ELj100EEvPKT0_PKjPS4_
	.globl	_Z6kernelI18striped_to_blockedN15benchmark_utils11custom_typeIffEELj256ELj3ELj100EEvPKT0_PKjPS4_
	.p2align	8
	.type	_Z6kernelI18striped_to_blockedN15benchmark_utils11custom_typeIffEELj256ELj3ELj100EEvPKT0_PKjPS4_,@function
_Z6kernelI18striped_to_blockedN15benchmark_utils11custom_typeIffEELj256ELj3ELj100EEvPKT0_PKjPS4_: ; @_Z6kernelI18striped_to_blockedN15benchmark_utils11custom_typeIffEELj256ELj3ELj100EEvPKT0_PKjPS4_
; %bb.0:
	s_load_dwordx2 s[2:3], s[4:5], 0x0
	s_mul_i32 s0, s6, 0x300
	s_mov_b32 s1, 0
	s_lshl_b64 s[0:1], s[0:1], 3
	v_lshlrev_b32_e32 v1, 3, v0
	s_waitcnt lgkmcnt(0)
	s_add_u32 s2, s2, s0
	s_addc_u32 s3, s3, s1
	v_mov_b32_e32 v2, s3
	v_add_co_u32_e32 v3, vcc, s2, v1
	v_addc_co_u32_e32 v2, vcc, 0, v2, vcc
	v_add_co_u32_e32 v8, vcc, 0x1000, v3
	v_addc_co_u32_e32 v9, vcc, 0, v2, vcc
	global_load_dwordx2 v[2:3], v1, s[2:3]
	global_load_dwordx2 v[4:5], v1, s[2:3] offset:2048
	global_load_dwordx2 v[6:7], v[8:9], off
	v_lshlrev_b32_e32 v8, 4, v0
	s_movk_i32 s2, 0x64
	v_add_u32_e32 v8, v1, v8
.LBB50_1:                               ; =>This Inner Loop Header: Depth=1
	s_waitcnt vmcnt(1)
	ds_write2st64_b64 v1, v[2:3], v[4:5] offset1:4
	s_waitcnt vmcnt(0)
	ds_write_b64 v1, v[6:7] offset:4096
	s_waitcnt lgkmcnt(0)
	s_barrier
	ds_read2_b64 v[2:5], v8 offset1:1
	ds_read_b64 v[6:7], v8 offset:16
	s_add_i32 s2, s2, -1
	s_cmp_lg_u32 s2, 0
	s_waitcnt lgkmcnt(0)
	s_barrier
	s_cbranch_scc1 .LBB50_1
; %bb.2:
	s_load_dwordx2 s[2:3], s[4:5], 0x10
	v_mul_u32_u24_e32 v0, 3, v0
	v_lshlrev_b32_e32 v0, 3, v0
	s_waitcnt lgkmcnt(0)
	s_add_u32 s0, s2, s0
	s_addc_u32 s1, s3, s1
	global_store_dwordx4 v0, v[2:5], s[0:1]
	global_store_dwordx2 v0, v[6:7], s[0:1] offset:16
	s_endpgm
	.section	.rodata,"a",@progbits
	.p2align	6, 0x0
	.amdhsa_kernel _Z6kernelI18striped_to_blockedN15benchmark_utils11custom_typeIffEELj256ELj3ELj100EEvPKT0_PKjPS4_
		.amdhsa_group_segment_fixed_size 6144
		.amdhsa_private_segment_fixed_size 0
		.amdhsa_kernarg_size 24
		.amdhsa_user_sgpr_count 6
		.amdhsa_user_sgpr_private_segment_buffer 1
		.amdhsa_user_sgpr_dispatch_ptr 0
		.amdhsa_user_sgpr_queue_ptr 0
		.amdhsa_user_sgpr_kernarg_segment_ptr 1
		.amdhsa_user_sgpr_dispatch_id 0
		.amdhsa_user_sgpr_flat_scratch_init 0
		.amdhsa_user_sgpr_kernarg_preload_length 0
		.amdhsa_user_sgpr_kernarg_preload_offset 0
		.amdhsa_user_sgpr_private_segment_size 0
		.amdhsa_uses_dynamic_stack 0
		.amdhsa_system_sgpr_private_segment_wavefront_offset 0
		.amdhsa_system_sgpr_workgroup_id_x 1
		.amdhsa_system_sgpr_workgroup_id_y 0
		.amdhsa_system_sgpr_workgroup_id_z 0
		.amdhsa_system_sgpr_workgroup_info 0
		.amdhsa_system_vgpr_workitem_id 0
		.amdhsa_next_free_vgpr 10
		.amdhsa_next_free_sgpr 7
		.amdhsa_accum_offset 12
		.amdhsa_reserve_vcc 1
		.amdhsa_reserve_flat_scratch 0
		.amdhsa_float_round_mode_32 0
		.amdhsa_float_round_mode_16_64 0
		.amdhsa_float_denorm_mode_32 3
		.amdhsa_float_denorm_mode_16_64 3
		.amdhsa_dx10_clamp 1
		.amdhsa_ieee_mode 1
		.amdhsa_fp16_overflow 0
		.amdhsa_tg_split 0
		.amdhsa_exception_fp_ieee_invalid_op 0
		.amdhsa_exception_fp_denorm_src 0
		.amdhsa_exception_fp_ieee_div_zero 0
		.amdhsa_exception_fp_ieee_overflow 0
		.amdhsa_exception_fp_ieee_underflow 0
		.amdhsa_exception_fp_ieee_inexact 0
		.amdhsa_exception_int_div_zero 0
	.end_amdhsa_kernel
	.section	.text._Z6kernelI18striped_to_blockedN15benchmark_utils11custom_typeIffEELj256ELj3ELj100EEvPKT0_PKjPS4_,"axG",@progbits,_Z6kernelI18striped_to_blockedN15benchmark_utils11custom_typeIffEELj256ELj3ELj100EEvPKT0_PKjPS4_,comdat
.Lfunc_end50:
	.size	_Z6kernelI18striped_to_blockedN15benchmark_utils11custom_typeIffEELj256ELj3ELj100EEvPKT0_PKjPS4_, .Lfunc_end50-_Z6kernelI18striped_to_blockedN15benchmark_utils11custom_typeIffEELj256ELj3ELj100EEvPKT0_PKjPS4_
                                        ; -- End function
	.section	.AMDGPU.csdata,"",@progbits
; Kernel info:
; codeLenInByte = 216
; NumSgprs: 11
; NumVgprs: 10
; NumAgprs: 0
; TotalNumVgprs: 10
; ScratchSize: 0
; MemoryBound: 0
; FloatMode: 240
; IeeeMode: 1
; LDSByteSize: 6144 bytes/workgroup (compile time only)
; SGPRBlocks: 1
; VGPRBlocks: 1
; NumSGPRsForWavesPerEU: 11
; NumVGPRsForWavesPerEU: 10
; AccumOffset: 12
; Occupancy: 8
; WaveLimiterHint : 1
; COMPUTE_PGM_RSRC2:SCRATCH_EN: 0
; COMPUTE_PGM_RSRC2:USER_SGPR: 6
; COMPUTE_PGM_RSRC2:TRAP_HANDLER: 0
; COMPUTE_PGM_RSRC2:TGID_X_EN: 1
; COMPUTE_PGM_RSRC2:TGID_Y_EN: 0
; COMPUTE_PGM_RSRC2:TGID_Z_EN: 0
; COMPUTE_PGM_RSRC2:TIDIG_COMP_CNT: 0
; COMPUTE_PGM_RSRC3_GFX90A:ACCUM_OFFSET: 2
; COMPUTE_PGM_RSRC3_GFX90A:TG_SPLIT: 0
	.section	.text._Z6kernelI18striped_to_blockedN15benchmark_utils11custom_typeIffEELj256ELj4ELj100EEvPKT0_PKjPS4_,"axG",@progbits,_Z6kernelI18striped_to_blockedN15benchmark_utils11custom_typeIffEELj256ELj4ELj100EEvPKT0_PKjPS4_,comdat
	.protected	_Z6kernelI18striped_to_blockedN15benchmark_utils11custom_typeIffEELj256ELj4ELj100EEvPKT0_PKjPS4_ ; -- Begin function _Z6kernelI18striped_to_blockedN15benchmark_utils11custom_typeIffEELj256ELj4ELj100EEvPKT0_PKjPS4_
	.globl	_Z6kernelI18striped_to_blockedN15benchmark_utils11custom_typeIffEELj256ELj4ELj100EEvPKT0_PKjPS4_
	.p2align	8
	.type	_Z6kernelI18striped_to_blockedN15benchmark_utils11custom_typeIffEELj256ELj4ELj100EEvPKT0_PKjPS4_,@function
_Z6kernelI18striped_to_blockedN15benchmark_utils11custom_typeIffEELj256ELj4ELj100EEvPKT0_PKjPS4_: ; @_Z6kernelI18striped_to_blockedN15benchmark_utils11custom_typeIffEELj256ELj4ELj100EEvPKT0_PKjPS4_
; %bb.0:
	s_load_dwordx2 s[2:3], s[4:5], 0x0
	s_lshl_b32 s0, s6, 10
	s_mov_b32 s1, 0
	s_lshl_b64 s[0:1], s[0:1], 3
	v_lshlrev_b32_e32 v13, 3, v0
	s_waitcnt lgkmcnt(0)
	s_add_u32 s2, s2, s0
	s_addc_u32 s3, s3, s1
	v_mov_b32_e32 v1, s3
	v_add_co_u32_e32 v2, vcc, s2, v13
	v_addc_co_u32_e32 v1, vcc, 0, v1, vcc
	s_movk_i32 s6, 0x1000
	v_add_co_u32_e32 v10, vcc, s6, v2
	v_addc_co_u32_e32 v11, vcc, 0, v1, vcc
	global_load_dwordx2 v[2:3], v13, s[2:3]
	global_load_dwordx2 v[4:5], v13, s[2:3] offset:2048
	global_load_dwordx2 v[6:7], v[10:11], off
	global_load_dwordx2 v[8:9], v[10:11], off offset:2048
	v_or_b32_e32 v11, 0x200, v0
	v_lshrrev_b32_e32 v11, 2, v11
	v_and_b32_e32 v11, 0xb8, v11
	v_or_b32_e32 v10, 0x100, v0
	v_add_u32_e32 v12, v11, v13
	v_or_b32_e32 v11, 0x300, v0
	v_lshrrev_b32_e32 v1, 2, v0
	v_lshrrev_b32_e32 v10, 2, v10
	;; [unrolled: 1-line block ×3, first 2 shown]
	v_and_b32_e32 v1, 56, v1
	v_and_b32_e32 v10, 0x78, v10
	;; [unrolled: 1-line block ×3, first 2 shown]
	v_add_u32_e32 v1, v1, v13
	v_add_u32_e32 v10, v10, v13
	;; [unrolled: 1-line block ×3, first 2 shown]
	v_lshlrev_b32_e32 v11, 2, v0
	v_lshrrev_b32_e32 v0, 3, v0
	v_add_lshl_u32 v0, v0, v11, 3
	s_movk_i32 s2, 0x64
.LBB51_1:                               ; =>This Inner Loop Header: Depth=1
	s_waitcnt vmcnt(3)
	ds_write_b64 v1, v[2:3]
	s_waitcnt vmcnt(2)
	ds_write_b64 v10, v[4:5] offset:2048
	s_waitcnt vmcnt(1)
	ds_write_b64 v12, v[6:7] offset:4096
	;; [unrolled: 2-line block ×3, first 2 shown]
	s_waitcnt lgkmcnt(0)
	s_barrier
	ds_read2_b64 v[2:5], v0 offset1:1
	ds_read2_b64 v[6:9], v0 offset0:2 offset1:3
	s_add_i32 s2, s2, -1
	s_cmp_lg_u32 s2, 0
	s_waitcnt lgkmcnt(0)
	s_barrier
	s_cbranch_scc1 .LBB51_1
; %bb.2:
	s_load_dwordx2 s[2:3], s[4:5], 0x10
	v_lshlrev_b32_e32 v0, 3, v11
	s_waitcnt lgkmcnt(0)
	s_add_u32 s0, s2, s0
	s_addc_u32 s1, s3, s1
	global_store_dwordx4 v0, v[2:5], s[0:1]
	global_store_dwordx4 v0, v[6:9], s[0:1] offset:16
	s_endpgm
	.section	.rodata,"a",@progbits
	.p2align	6, 0x0
	.amdhsa_kernel _Z6kernelI18striped_to_blockedN15benchmark_utils11custom_typeIffEELj256ELj4ELj100EEvPKT0_PKjPS4_
		.amdhsa_group_segment_fixed_size 8448
		.amdhsa_private_segment_fixed_size 0
		.amdhsa_kernarg_size 24
		.amdhsa_user_sgpr_count 6
		.amdhsa_user_sgpr_private_segment_buffer 1
		.amdhsa_user_sgpr_dispatch_ptr 0
		.amdhsa_user_sgpr_queue_ptr 0
		.amdhsa_user_sgpr_kernarg_segment_ptr 1
		.amdhsa_user_sgpr_dispatch_id 0
		.amdhsa_user_sgpr_flat_scratch_init 0
		.amdhsa_user_sgpr_kernarg_preload_length 0
		.amdhsa_user_sgpr_kernarg_preload_offset 0
		.amdhsa_user_sgpr_private_segment_size 0
		.amdhsa_uses_dynamic_stack 0
		.amdhsa_system_sgpr_private_segment_wavefront_offset 0
		.amdhsa_system_sgpr_workgroup_id_x 1
		.amdhsa_system_sgpr_workgroup_id_y 0
		.amdhsa_system_sgpr_workgroup_id_z 0
		.amdhsa_system_sgpr_workgroup_info 0
		.amdhsa_system_vgpr_workitem_id 0
		.amdhsa_next_free_vgpr 14
		.amdhsa_next_free_sgpr 7
		.amdhsa_accum_offset 16
		.amdhsa_reserve_vcc 1
		.amdhsa_reserve_flat_scratch 0
		.amdhsa_float_round_mode_32 0
		.amdhsa_float_round_mode_16_64 0
		.amdhsa_float_denorm_mode_32 3
		.amdhsa_float_denorm_mode_16_64 3
		.amdhsa_dx10_clamp 1
		.amdhsa_ieee_mode 1
		.amdhsa_fp16_overflow 0
		.amdhsa_tg_split 0
		.amdhsa_exception_fp_ieee_invalid_op 0
		.amdhsa_exception_fp_denorm_src 0
		.amdhsa_exception_fp_ieee_div_zero 0
		.amdhsa_exception_fp_ieee_overflow 0
		.amdhsa_exception_fp_ieee_underflow 0
		.amdhsa_exception_fp_ieee_inexact 0
		.amdhsa_exception_int_div_zero 0
	.end_amdhsa_kernel
	.section	.text._Z6kernelI18striped_to_blockedN15benchmark_utils11custom_typeIffEELj256ELj4ELj100EEvPKT0_PKjPS4_,"axG",@progbits,_Z6kernelI18striped_to_blockedN15benchmark_utils11custom_typeIffEELj256ELj4ELj100EEvPKT0_PKjPS4_,comdat
.Lfunc_end51:
	.size	_Z6kernelI18striped_to_blockedN15benchmark_utils11custom_typeIffEELj256ELj4ELj100EEvPKT0_PKjPS4_, .Lfunc_end51-_Z6kernelI18striped_to_blockedN15benchmark_utils11custom_typeIffEELj256ELj4ELj100EEvPKT0_PKjPS4_
                                        ; -- End function
	.section	.AMDGPU.csdata,"",@progbits
; Kernel info:
; codeLenInByte = 332
; NumSgprs: 11
; NumVgprs: 14
; NumAgprs: 0
; TotalNumVgprs: 14
; ScratchSize: 0
; MemoryBound: 0
; FloatMode: 240
; IeeeMode: 1
; LDSByteSize: 8448 bytes/workgroup (compile time only)
; SGPRBlocks: 1
; VGPRBlocks: 1
; NumSGPRsForWavesPerEU: 11
; NumVGPRsForWavesPerEU: 14
; AccumOffset: 16
; Occupancy: 7
; WaveLimiterHint : 1
; COMPUTE_PGM_RSRC2:SCRATCH_EN: 0
; COMPUTE_PGM_RSRC2:USER_SGPR: 6
; COMPUTE_PGM_RSRC2:TRAP_HANDLER: 0
; COMPUTE_PGM_RSRC2:TGID_X_EN: 1
; COMPUTE_PGM_RSRC2:TGID_Y_EN: 0
; COMPUTE_PGM_RSRC2:TGID_Z_EN: 0
; COMPUTE_PGM_RSRC2:TIDIG_COMP_CNT: 0
; COMPUTE_PGM_RSRC3_GFX90A:ACCUM_OFFSET: 3
; COMPUTE_PGM_RSRC3_GFX90A:TG_SPLIT: 0
	.section	.text._Z6kernelI18striped_to_blockedN15benchmark_utils11custom_typeIffEELj256ELj7ELj100EEvPKT0_PKjPS4_,"axG",@progbits,_Z6kernelI18striped_to_blockedN15benchmark_utils11custom_typeIffEELj256ELj7ELj100EEvPKT0_PKjPS4_,comdat
	.protected	_Z6kernelI18striped_to_blockedN15benchmark_utils11custom_typeIffEELj256ELj7ELj100EEvPKT0_PKjPS4_ ; -- Begin function _Z6kernelI18striped_to_blockedN15benchmark_utils11custom_typeIffEELj256ELj7ELj100EEvPKT0_PKjPS4_
	.globl	_Z6kernelI18striped_to_blockedN15benchmark_utils11custom_typeIffEELj256ELj7ELj100EEvPKT0_PKjPS4_
	.p2align	8
	.type	_Z6kernelI18striped_to_blockedN15benchmark_utils11custom_typeIffEELj256ELj7ELj100EEvPKT0_PKjPS4_,@function
_Z6kernelI18striped_to_blockedN15benchmark_utils11custom_typeIffEELj256ELj7ELj100EEvPKT0_PKjPS4_: ; @_Z6kernelI18striped_to_blockedN15benchmark_utils11custom_typeIffEELj256ELj7ELj100EEvPKT0_PKjPS4_
; %bb.0:
	s_load_dwordx2 s[2:3], s[4:5], 0x0
	s_mul_i32 s0, s6, 0x700
	s_mov_b32 s1, 0
	s_lshl_b64 s[0:1], s[0:1], 3
	v_lshlrev_b32_e32 v1, 3, v0
	s_waitcnt lgkmcnt(0)
	s_add_u32 s2, s2, s0
	s_addc_u32 s3, s3, s1
	v_mov_b32_e32 v2, s3
	v_add_co_u32_e32 v12, vcc, s2, v1
	v_addc_co_u32_e32 v13, vcc, 0, v2, vcc
	s_movk_i32 s6, 0x1000
	v_add_co_u32_e32 v10, vcc, s6, v12
	v_addc_co_u32_e32 v11, vcc, 0, v13, vcc
	v_add_co_u32_e32 v16, vcc, 0x2000, v12
	v_addc_co_u32_e32 v17, vcc, 0, v13, vcc
	global_load_dwordx2 v[2:3], v1, s[2:3]
	global_load_dwordx2 v[4:5], v1, s[2:3] offset:2048
	global_load_dwordx2 v[6:7], v[10:11], off
	global_load_dwordx2 v[8:9], v[10:11], off offset:2048
	v_add_co_u32_e32 v18, vcc, 0x3000, v12
	v_addc_co_u32_e32 v19, vcc, 0, v13, vcc
	global_load_dwordx2 v[10:11], v[16:17], off
	global_load_dwordx2 v[12:13], v[16:17], off offset:2048
	global_load_dwordx2 v[14:15], v[18:19], off
	v_mul_u32_u24_e32 v16, 48, v0
	s_movk_i32 s2, 0x64
	v_add_u32_e32 v16, v1, v16
.LBB52_1:                               ; =>This Inner Loop Header: Depth=1
	s_waitcnt vmcnt(5)
	ds_write2st64_b64 v1, v[2:3], v[4:5] offset1:4
	s_waitcnt vmcnt(3)
	ds_write2st64_b64 v1, v[6:7], v[8:9] offset0:8 offset1:12
	s_waitcnt vmcnt(1)
	ds_write2st64_b64 v1, v[10:11], v[12:13] offset0:16 offset1:20
	s_waitcnt vmcnt(0)
	ds_write_b64 v1, v[14:15] offset:12288
	s_waitcnt lgkmcnt(0)
	s_barrier
	ds_read2_b64 v[2:5], v16 offset1:1
	ds_read2_b64 v[6:9], v16 offset0:2 offset1:3
	ds_read2_b64 v[10:13], v16 offset0:4 offset1:5
	ds_read_b64 v[14:15], v16 offset:48
	s_add_i32 s2, s2, -1
	s_cmp_lg_u32 s2, 0
	s_waitcnt lgkmcnt(0)
	s_barrier
	s_cbranch_scc1 .LBB52_1
; %bb.2:
	s_load_dwordx2 s[2:3], s[4:5], 0x10
	v_mul_u32_u24_e32 v0, 7, v0
	v_lshlrev_b32_e32 v0, 3, v0
	s_waitcnt lgkmcnt(0)
	s_add_u32 s0, s2, s0
	s_addc_u32 s1, s3, s1
	global_store_dwordx4 v0, v[2:5], s[0:1]
	global_store_dwordx4 v0, v[6:9], s[0:1] offset:16
	global_store_dwordx4 v0, v[10:13], s[0:1] offset:32
	global_store_dwordx2 v0, v[14:15], s[0:1] offset:48
	s_endpgm
	.section	.rodata,"a",@progbits
	.p2align	6, 0x0
	.amdhsa_kernel _Z6kernelI18striped_to_blockedN15benchmark_utils11custom_typeIffEELj256ELj7ELj100EEvPKT0_PKjPS4_
		.amdhsa_group_segment_fixed_size 14336
		.amdhsa_private_segment_fixed_size 0
		.amdhsa_kernarg_size 24
		.amdhsa_user_sgpr_count 6
		.amdhsa_user_sgpr_private_segment_buffer 1
		.amdhsa_user_sgpr_dispatch_ptr 0
		.amdhsa_user_sgpr_queue_ptr 0
		.amdhsa_user_sgpr_kernarg_segment_ptr 1
		.amdhsa_user_sgpr_dispatch_id 0
		.amdhsa_user_sgpr_flat_scratch_init 0
		.amdhsa_user_sgpr_kernarg_preload_length 0
		.amdhsa_user_sgpr_kernarg_preload_offset 0
		.amdhsa_user_sgpr_private_segment_size 0
		.amdhsa_uses_dynamic_stack 0
		.amdhsa_system_sgpr_private_segment_wavefront_offset 0
		.amdhsa_system_sgpr_workgroup_id_x 1
		.amdhsa_system_sgpr_workgroup_id_y 0
		.amdhsa_system_sgpr_workgroup_id_z 0
		.amdhsa_system_sgpr_workgroup_info 0
		.amdhsa_system_vgpr_workitem_id 0
		.amdhsa_next_free_vgpr 20
		.amdhsa_next_free_sgpr 7
		.amdhsa_accum_offset 20
		.amdhsa_reserve_vcc 1
		.amdhsa_reserve_flat_scratch 0
		.amdhsa_float_round_mode_32 0
		.amdhsa_float_round_mode_16_64 0
		.amdhsa_float_denorm_mode_32 3
		.amdhsa_float_denorm_mode_16_64 3
		.amdhsa_dx10_clamp 1
		.amdhsa_ieee_mode 1
		.amdhsa_fp16_overflow 0
		.amdhsa_tg_split 0
		.amdhsa_exception_fp_ieee_invalid_op 0
		.amdhsa_exception_fp_denorm_src 0
		.amdhsa_exception_fp_ieee_div_zero 0
		.amdhsa_exception_fp_ieee_overflow 0
		.amdhsa_exception_fp_ieee_underflow 0
		.amdhsa_exception_fp_ieee_inexact 0
		.amdhsa_exception_int_div_zero 0
	.end_amdhsa_kernel
	.section	.text._Z6kernelI18striped_to_blockedN15benchmark_utils11custom_typeIffEELj256ELj7ELj100EEvPKT0_PKjPS4_,"axG",@progbits,_Z6kernelI18striped_to_blockedN15benchmark_utils11custom_typeIffEELj256ELj7ELj100EEvPKT0_PKjPS4_,comdat
.Lfunc_end52:
	.size	_Z6kernelI18striped_to_blockedN15benchmark_utils11custom_typeIffEELj256ELj7ELj100EEvPKT0_PKjPS4_, .Lfunc_end52-_Z6kernelI18striped_to_blockedN15benchmark_utils11custom_typeIffEELj256ELj7ELj100EEvPKT0_PKjPS4_
                                        ; -- End function
	.section	.AMDGPU.csdata,"",@progbits
; Kernel info:
; codeLenInByte = 328
; NumSgprs: 11
; NumVgprs: 20
; NumAgprs: 0
; TotalNumVgprs: 20
; ScratchSize: 0
; MemoryBound: 0
; FloatMode: 240
; IeeeMode: 1
; LDSByteSize: 14336 bytes/workgroup (compile time only)
; SGPRBlocks: 1
; VGPRBlocks: 2
; NumSGPRsForWavesPerEU: 11
; NumVGPRsForWavesPerEU: 20
; AccumOffset: 20
; Occupancy: 4
; WaveLimiterHint : 1
; COMPUTE_PGM_RSRC2:SCRATCH_EN: 0
; COMPUTE_PGM_RSRC2:USER_SGPR: 6
; COMPUTE_PGM_RSRC2:TRAP_HANDLER: 0
; COMPUTE_PGM_RSRC2:TGID_X_EN: 1
; COMPUTE_PGM_RSRC2:TGID_Y_EN: 0
; COMPUTE_PGM_RSRC2:TGID_Z_EN: 0
; COMPUTE_PGM_RSRC2:TIDIG_COMP_CNT: 0
; COMPUTE_PGM_RSRC3_GFX90A:ACCUM_OFFSET: 4
; COMPUTE_PGM_RSRC3_GFX90A:TG_SPLIT: 0
	.section	.text._Z6kernelI18striped_to_blockedN15benchmark_utils11custom_typeIffEELj256ELj8ELj100EEvPKT0_PKjPS4_,"axG",@progbits,_Z6kernelI18striped_to_blockedN15benchmark_utils11custom_typeIffEELj256ELj8ELj100EEvPKT0_PKjPS4_,comdat
	.protected	_Z6kernelI18striped_to_blockedN15benchmark_utils11custom_typeIffEELj256ELj8ELj100EEvPKT0_PKjPS4_ ; -- Begin function _Z6kernelI18striped_to_blockedN15benchmark_utils11custom_typeIffEELj256ELj8ELj100EEvPKT0_PKjPS4_
	.globl	_Z6kernelI18striped_to_blockedN15benchmark_utils11custom_typeIffEELj256ELj8ELj100EEvPKT0_PKjPS4_
	.p2align	8
	.type	_Z6kernelI18striped_to_blockedN15benchmark_utils11custom_typeIffEELj256ELj8ELj100EEvPKT0_PKjPS4_,@function
_Z6kernelI18striped_to_blockedN15benchmark_utils11custom_typeIffEELj256ELj8ELj100EEvPKT0_PKjPS4_: ; @_Z6kernelI18striped_to_blockedN15benchmark_utils11custom_typeIffEELj256ELj8ELj100EEvPKT0_PKjPS4_
; %bb.0:
	s_load_dwordx2 s[2:3], s[4:5], 0x0
	s_lshl_b32 s0, s6, 11
	s_mov_b32 s1, 0
	s_lshl_b64 s[0:1], s[0:1], 3
	v_lshlrev_b32_e32 v1, 3, v0
	s_waitcnt lgkmcnt(0)
	s_add_u32 s2, s2, s0
	s_addc_u32 s3, s3, s1
	v_mov_b32_e32 v2, s3
	v_add_co_u32_e32 v3, vcc, s2, v1
	v_addc_co_u32_e32 v2, vcc, 0, v2, vcc
	s_movk_i32 s6, 0x1000
	v_add_co_u32_e32 v18, vcc, s6, v3
	v_addc_co_u32_e32 v19, vcc, 0, v2, vcc
	s_movk_i32 s6, 0x2000
	;; [unrolled: 3-line block ×3, first 2 shown]
	v_add_co_u32_e32 v22, vcc, s6, v3
	global_load_dwordx2 v[6:7], v[20:21], off
	global_load_dwordx2 v[8:9], v[20:21], off offset:2048
	v_addc_co_u32_e32 v23, vcc, 0, v2, vcc
	global_load_dwordx2 v[2:3], v1, s[2:3]
	global_load_dwordx2 v[4:5], v1, s[2:3] offset:2048
	global_load_dwordx2 v[12:13], v[18:19], off offset:2048
	global_load_dwordx2 v[14:15], v[22:23], off
	global_load_dwordx2 v[10:11], v[20:21], off offset:-4096
	global_load_dwordx2 v[16:17], v[22:23], off offset:2048
	v_lshrrev_b32_e32 v25, 2, v0
	v_or_b32_e32 v19, 0x100, v0
	v_or_b32_e32 v20, 0x200, v0
	;; [unrolled: 1-line block ×7, first 2 shown]
	v_lshrrev_b32_e32 v19, 2, v19
	v_lshrrev_b32_e32 v20, 2, v20
	;; [unrolled: 1-line block ×7, first 2 shown]
	v_and_b32_e32 v18, 56, v25
	v_and_b32_e32 v19, 0x78, v19
	;; [unrolled: 1-line block ×8, first 2 shown]
	v_add_u32_e32 v18, v18, v1
	v_add_u32_e32 v19, v19, v1
	;; [unrolled: 1-line block ×8, first 2 shown]
	v_add_lshl_u32 v25, v25, v1, 3
	s_movk_i32 s2, 0x64
.LBB53_1:                               ; =>This Inner Loop Header: Depth=1
	s_waitcnt vmcnt(5)
	ds_write_b64 v18, v[2:3]
	s_waitcnt vmcnt(4)
	ds_write_b64 v19, v[4:5] offset:2048
	s_waitcnt vmcnt(1)
	ds_write_b64 v20, v[10:11] offset:4096
	ds_write_b64 v21, v[12:13] offset:6144
	;; [unrolled: 1-line block ×5, first 2 shown]
	s_waitcnt vmcnt(0)
	ds_write_b64 v0, v[16:17] offset:14336
	s_waitcnt lgkmcnt(0)
	s_barrier
	ds_read2_b64 v[2:5], v25 offset1:1
	ds_read2_b64 v[10:13], v25 offset0:2 offset1:3
	ds_read2_b64 v[6:9], v25 offset0:4 offset1:5
	;; [unrolled: 1-line block ×3, first 2 shown]
	s_add_i32 s2, s2, -1
	s_cmp_lg_u32 s2, 0
	s_waitcnt lgkmcnt(0)
	s_barrier
	s_cbranch_scc1 .LBB53_1
; %bb.2:
	s_load_dwordx2 s[2:3], s[4:5], 0x10
	v_lshlrev_b32_e32 v0, 3, v1
	s_waitcnt lgkmcnt(0)
	s_add_u32 s0, s2, s0
	s_addc_u32 s1, s3, s1
	global_store_dwordx4 v0, v[2:5], s[0:1]
	global_store_dwordx4 v0, v[10:13], s[0:1] offset:16
	global_store_dwordx4 v0, v[6:9], s[0:1] offset:32
	;; [unrolled: 1-line block ×3, first 2 shown]
	s_endpgm
	.section	.rodata,"a",@progbits
	.p2align	6, 0x0
	.amdhsa_kernel _Z6kernelI18striped_to_blockedN15benchmark_utils11custom_typeIffEELj256ELj8ELj100EEvPKT0_PKjPS4_
		.amdhsa_group_segment_fixed_size 16896
		.amdhsa_private_segment_fixed_size 0
		.amdhsa_kernarg_size 24
		.amdhsa_user_sgpr_count 6
		.amdhsa_user_sgpr_private_segment_buffer 1
		.amdhsa_user_sgpr_dispatch_ptr 0
		.amdhsa_user_sgpr_queue_ptr 0
		.amdhsa_user_sgpr_kernarg_segment_ptr 1
		.amdhsa_user_sgpr_dispatch_id 0
		.amdhsa_user_sgpr_flat_scratch_init 0
		.amdhsa_user_sgpr_kernarg_preload_length 0
		.amdhsa_user_sgpr_kernarg_preload_offset 0
		.amdhsa_user_sgpr_private_segment_size 0
		.amdhsa_uses_dynamic_stack 0
		.amdhsa_system_sgpr_private_segment_wavefront_offset 0
		.amdhsa_system_sgpr_workgroup_id_x 1
		.amdhsa_system_sgpr_workgroup_id_y 0
		.amdhsa_system_sgpr_workgroup_id_z 0
		.amdhsa_system_sgpr_workgroup_info 0
		.amdhsa_system_vgpr_workitem_id 0
		.amdhsa_next_free_vgpr 26
		.amdhsa_next_free_sgpr 7
		.amdhsa_accum_offset 28
		.amdhsa_reserve_vcc 1
		.amdhsa_reserve_flat_scratch 0
		.amdhsa_float_round_mode_32 0
		.amdhsa_float_round_mode_16_64 0
		.amdhsa_float_denorm_mode_32 3
		.amdhsa_float_denorm_mode_16_64 3
		.amdhsa_dx10_clamp 1
		.amdhsa_ieee_mode 1
		.amdhsa_fp16_overflow 0
		.amdhsa_tg_split 0
		.amdhsa_exception_fp_ieee_invalid_op 0
		.amdhsa_exception_fp_denorm_src 0
		.amdhsa_exception_fp_ieee_div_zero 0
		.amdhsa_exception_fp_ieee_overflow 0
		.amdhsa_exception_fp_ieee_underflow 0
		.amdhsa_exception_fp_ieee_inexact 0
		.amdhsa_exception_int_div_zero 0
	.end_amdhsa_kernel
	.section	.text._Z6kernelI18striped_to_blockedN15benchmark_utils11custom_typeIffEELj256ELj8ELj100EEvPKT0_PKjPS4_,"axG",@progbits,_Z6kernelI18striped_to_blockedN15benchmark_utils11custom_typeIffEELj256ELj8ELj100EEvPKT0_PKjPS4_,comdat
.Lfunc_end53:
	.size	_Z6kernelI18striped_to_blockedN15benchmark_utils11custom_typeIffEELj256ELj8ELj100EEvPKT0_PKjPS4_, .Lfunc_end53-_Z6kernelI18striped_to_blockedN15benchmark_utils11custom_typeIffEELj256ELj8ELj100EEvPKT0_PKjPS4_
                                        ; -- End function
	.section	.AMDGPU.csdata,"",@progbits
; Kernel info:
; codeLenInByte = 540
; NumSgprs: 11
; NumVgprs: 26
; NumAgprs: 0
; TotalNumVgprs: 26
; ScratchSize: 0
; MemoryBound: 0
; FloatMode: 240
; IeeeMode: 1
; LDSByteSize: 16896 bytes/workgroup (compile time only)
; SGPRBlocks: 1
; VGPRBlocks: 3
; NumSGPRsForWavesPerEU: 11
; NumVGPRsForWavesPerEU: 26
; AccumOffset: 28
; Occupancy: 3
; WaveLimiterHint : 1
; COMPUTE_PGM_RSRC2:SCRATCH_EN: 0
; COMPUTE_PGM_RSRC2:USER_SGPR: 6
; COMPUTE_PGM_RSRC2:TRAP_HANDLER: 0
; COMPUTE_PGM_RSRC2:TGID_X_EN: 1
; COMPUTE_PGM_RSRC2:TGID_Y_EN: 0
; COMPUTE_PGM_RSRC2:TGID_Z_EN: 0
; COMPUTE_PGM_RSRC2:TIDIG_COMP_CNT: 0
; COMPUTE_PGM_RSRC3_GFX90A:ACCUM_OFFSET: 6
; COMPUTE_PGM_RSRC3_GFX90A:TG_SPLIT: 0
	.section	.text._Z6kernelI18striped_to_blockedN15benchmark_utils11custom_typeIddEELj256ELj1ELj100EEvPKT0_PKjPS4_,"axG",@progbits,_Z6kernelI18striped_to_blockedN15benchmark_utils11custom_typeIddEELj256ELj1ELj100EEvPKT0_PKjPS4_,comdat
	.protected	_Z6kernelI18striped_to_blockedN15benchmark_utils11custom_typeIddEELj256ELj1ELj100EEvPKT0_PKjPS4_ ; -- Begin function _Z6kernelI18striped_to_blockedN15benchmark_utils11custom_typeIddEELj256ELj1ELj100EEvPKT0_PKjPS4_
	.globl	_Z6kernelI18striped_to_blockedN15benchmark_utils11custom_typeIddEELj256ELj1ELj100EEvPKT0_PKjPS4_
	.p2align	8
	.type	_Z6kernelI18striped_to_blockedN15benchmark_utils11custom_typeIddEELj256ELj1ELj100EEvPKT0_PKjPS4_,@function
_Z6kernelI18striped_to_blockedN15benchmark_utils11custom_typeIddEELj256ELj1ELj100EEvPKT0_PKjPS4_: ; @_Z6kernelI18striped_to_blockedN15benchmark_utils11custom_typeIddEELj256ELj1ELj100EEvPKT0_PKjPS4_
; %bb.0:
	s_load_dwordx2 s[2:3], s[4:5], 0x0
	s_lshl_b32 s0, s6, 8
	s_mov_b32 s1, 0
	s_lshl_b64 s[0:1], s[0:1], 4
	v_lshlrev_b32_e32 v1, 4, v0
	s_waitcnt lgkmcnt(0)
	s_add_u32 s2, s2, s0
	s_addc_u32 s3, s3, s1
	global_load_dwordx4 v[2:5], v1, s[2:3]
	s_movk_i32 s2, 0x64
.LBB54_1:                               ; =>This Inner Loop Header: Depth=1
	s_waitcnt vmcnt(0)
	ds_write_b128 v1, v[2:5]
	s_waitcnt lgkmcnt(0)
	s_barrier
	ds_read_b128 v[2:5], v1
	s_add_i32 s2, s2, -1
	s_cmp_lg_u32 s2, 0
	s_waitcnt lgkmcnt(0)
	s_barrier
	s_cbranch_scc1 .LBB54_1
; %bb.2:
	s_load_dwordx2 s[2:3], s[4:5], 0x10
	v_lshlrev_b32_e32 v0, 4, v0
	s_waitcnt lgkmcnt(0)
	s_add_u32 s0, s2, s0
	s_addc_u32 s1, s3, s1
	global_store_dwordx4 v0, v[2:5], s[0:1]
	s_endpgm
	.section	.rodata,"a",@progbits
	.p2align	6, 0x0
	.amdhsa_kernel _Z6kernelI18striped_to_blockedN15benchmark_utils11custom_typeIddEELj256ELj1ELj100EEvPKT0_PKjPS4_
		.amdhsa_group_segment_fixed_size 4096
		.amdhsa_private_segment_fixed_size 0
		.amdhsa_kernarg_size 24
		.amdhsa_user_sgpr_count 6
		.amdhsa_user_sgpr_private_segment_buffer 1
		.amdhsa_user_sgpr_dispatch_ptr 0
		.amdhsa_user_sgpr_queue_ptr 0
		.amdhsa_user_sgpr_kernarg_segment_ptr 1
		.amdhsa_user_sgpr_dispatch_id 0
		.amdhsa_user_sgpr_flat_scratch_init 0
		.amdhsa_user_sgpr_kernarg_preload_length 0
		.amdhsa_user_sgpr_kernarg_preload_offset 0
		.amdhsa_user_sgpr_private_segment_size 0
		.amdhsa_uses_dynamic_stack 0
		.amdhsa_system_sgpr_private_segment_wavefront_offset 0
		.amdhsa_system_sgpr_workgroup_id_x 1
		.amdhsa_system_sgpr_workgroup_id_y 0
		.amdhsa_system_sgpr_workgroup_id_z 0
		.amdhsa_system_sgpr_workgroup_info 0
		.amdhsa_system_vgpr_workitem_id 0
		.amdhsa_next_free_vgpr 6
		.amdhsa_next_free_sgpr 7
		.amdhsa_accum_offset 8
		.amdhsa_reserve_vcc 0
		.amdhsa_reserve_flat_scratch 0
		.amdhsa_float_round_mode_32 0
		.amdhsa_float_round_mode_16_64 0
		.amdhsa_float_denorm_mode_32 3
		.amdhsa_float_denorm_mode_16_64 3
		.amdhsa_dx10_clamp 1
		.amdhsa_ieee_mode 1
		.amdhsa_fp16_overflow 0
		.amdhsa_tg_split 0
		.amdhsa_exception_fp_ieee_invalid_op 0
		.amdhsa_exception_fp_denorm_src 0
		.amdhsa_exception_fp_ieee_div_zero 0
		.amdhsa_exception_fp_ieee_overflow 0
		.amdhsa_exception_fp_ieee_underflow 0
		.amdhsa_exception_fp_ieee_inexact 0
		.amdhsa_exception_int_div_zero 0
	.end_amdhsa_kernel
	.section	.text._Z6kernelI18striped_to_blockedN15benchmark_utils11custom_typeIddEELj256ELj1ELj100EEvPKT0_PKjPS4_,"axG",@progbits,_Z6kernelI18striped_to_blockedN15benchmark_utils11custom_typeIddEELj256ELj1ELj100EEvPKT0_PKjPS4_,comdat
.Lfunc_end54:
	.size	_Z6kernelI18striped_to_blockedN15benchmark_utils11custom_typeIddEELj256ELj1ELj100EEvPKT0_PKjPS4_, .Lfunc_end54-_Z6kernelI18striped_to_blockedN15benchmark_utils11custom_typeIddEELj256ELj1ELj100EEvPKT0_PKjPS4_
                                        ; -- End function
	.section	.AMDGPU.csdata,"",@progbits
; Kernel info:
; codeLenInByte = 132
; NumSgprs: 11
; NumVgprs: 6
; NumAgprs: 0
; TotalNumVgprs: 6
; ScratchSize: 0
; MemoryBound: 0
; FloatMode: 240
; IeeeMode: 1
; LDSByteSize: 4096 bytes/workgroup (compile time only)
; SGPRBlocks: 1
; VGPRBlocks: 0
; NumSGPRsForWavesPerEU: 11
; NumVGPRsForWavesPerEU: 6
; AccumOffset: 8
; Occupancy: 8
; WaveLimiterHint : 0
; COMPUTE_PGM_RSRC2:SCRATCH_EN: 0
; COMPUTE_PGM_RSRC2:USER_SGPR: 6
; COMPUTE_PGM_RSRC2:TRAP_HANDLER: 0
; COMPUTE_PGM_RSRC2:TGID_X_EN: 1
; COMPUTE_PGM_RSRC2:TGID_Y_EN: 0
; COMPUTE_PGM_RSRC2:TGID_Z_EN: 0
; COMPUTE_PGM_RSRC2:TIDIG_COMP_CNT: 0
; COMPUTE_PGM_RSRC3_GFX90A:ACCUM_OFFSET: 1
; COMPUTE_PGM_RSRC3_GFX90A:TG_SPLIT: 0
	.section	.text._Z6kernelI18striped_to_blockedN15benchmark_utils11custom_typeIddEELj256ELj2ELj100EEvPKT0_PKjPS4_,"axG",@progbits,_Z6kernelI18striped_to_blockedN15benchmark_utils11custom_typeIddEELj256ELj2ELj100EEvPKT0_PKjPS4_,comdat
	.protected	_Z6kernelI18striped_to_blockedN15benchmark_utils11custom_typeIddEELj256ELj2ELj100EEvPKT0_PKjPS4_ ; -- Begin function _Z6kernelI18striped_to_blockedN15benchmark_utils11custom_typeIddEELj256ELj2ELj100EEvPKT0_PKjPS4_
	.globl	_Z6kernelI18striped_to_blockedN15benchmark_utils11custom_typeIddEELj256ELj2ELj100EEvPKT0_PKjPS4_
	.p2align	8
	.type	_Z6kernelI18striped_to_blockedN15benchmark_utils11custom_typeIddEELj256ELj2ELj100EEvPKT0_PKjPS4_,@function
_Z6kernelI18striped_to_blockedN15benchmark_utils11custom_typeIddEELj256ELj2ELj100EEvPKT0_PKjPS4_: ; @_Z6kernelI18striped_to_blockedN15benchmark_utils11custom_typeIddEELj256ELj2ELj100EEvPKT0_PKjPS4_
; %bb.0:
	s_load_dwordx2 s[2:3], s[4:5], 0x0
	s_lshl_b32 s0, s6, 9
	s_mov_b32 s1, 0
	s_lshl_b64 s[0:1], s[0:1], 4
	v_lshlrev_b32_e32 v1, 4, v0
	s_waitcnt lgkmcnt(0)
	s_add_u32 s2, s2, s0
	s_addc_u32 s3, s3, s1
	v_mov_b32_e32 v2, s3
	v_add_co_u32_e32 v3, vcc, s2, v1
	v_addc_co_u32_e32 v2, vcc, 0, v2, vcc
	s_movk_i32 s6, 0x1000
	v_add_co_u32_e32 v10, vcc, s6, v3
	v_addc_co_u32_e32 v11, vcc, 0, v2, vcc
	global_load_dwordx4 v[6:9], v1, s[2:3]
	global_load_dwordx4 v[2:5], v[10:11], off
	v_or_b32_e32 v11, 0x100, v0
	v_lshrrev_b32_e32 v10, 1, v0
	v_lshrrev_b32_e32 v11, 1, v11
	v_and_b32_e32 v10, 0x70, v10
	v_and_b32_e32 v11, 0xf0, v11
	v_add_u32_e32 v10, v10, v1
	v_add_u32_e32 v11, v11, v1
	v_lshlrev_b32_e32 v1, 1, v0
	v_lshrrev_b32_e32 v0, 4, v0
	v_add_lshl_u32 v0, v0, v1, 4
	s_movk_i32 s2, 0x64
.LBB55_1:                               ; =>This Inner Loop Header: Depth=1
	s_waitcnt vmcnt(1)
	ds_write_b128 v10, v[6:9]
	s_waitcnt vmcnt(0)
	ds_write_b128 v11, v[2:5] offset:4096
	s_waitcnt lgkmcnt(0)
	s_barrier
	ds_read_b128 v[6:9], v0
	ds_read_b128 v[2:5], v0 offset:16
	s_add_i32 s2, s2, -1
	s_cmp_lg_u32 s2, 0
	s_waitcnt lgkmcnt(0)
	s_barrier
	s_cbranch_scc1 .LBB55_1
; %bb.2:
	s_load_dwordx2 s[2:3], s[4:5], 0x10
	v_lshlrev_b32_e32 v0, 4, v1
	s_waitcnt lgkmcnt(0)
	s_add_u32 s0, s2, s0
	s_addc_u32 s1, s3, s1
	global_store_dwordx4 v0, v[6:9], s[0:1]
	global_store_dwordx4 v0, v[2:5], s[0:1] offset:16
	s_endpgm
	.section	.rodata,"a",@progbits
	.p2align	6, 0x0
	.amdhsa_kernel _Z6kernelI18striped_to_blockedN15benchmark_utils11custom_typeIddEELj256ELj2ELj100EEvPKT0_PKjPS4_
		.amdhsa_group_segment_fixed_size 8448
		.amdhsa_private_segment_fixed_size 0
		.amdhsa_kernarg_size 24
		.amdhsa_user_sgpr_count 6
		.amdhsa_user_sgpr_private_segment_buffer 1
		.amdhsa_user_sgpr_dispatch_ptr 0
		.amdhsa_user_sgpr_queue_ptr 0
		.amdhsa_user_sgpr_kernarg_segment_ptr 1
		.amdhsa_user_sgpr_dispatch_id 0
		.amdhsa_user_sgpr_flat_scratch_init 0
		.amdhsa_user_sgpr_kernarg_preload_length 0
		.amdhsa_user_sgpr_kernarg_preload_offset 0
		.amdhsa_user_sgpr_private_segment_size 0
		.amdhsa_uses_dynamic_stack 0
		.amdhsa_system_sgpr_private_segment_wavefront_offset 0
		.amdhsa_system_sgpr_workgroup_id_x 1
		.amdhsa_system_sgpr_workgroup_id_y 0
		.amdhsa_system_sgpr_workgroup_id_z 0
		.amdhsa_system_sgpr_workgroup_info 0
		.amdhsa_system_vgpr_workitem_id 0
		.amdhsa_next_free_vgpr 12
		.amdhsa_next_free_sgpr 7
		.amdhsa_accum_offset 12
		.amdhsa_reserve_vcc 1
		.amdhsa_reserve_flat_scratch 0
		.amdhsa_float_round_mode_32 0
		.amdhsa_float_round_mode_16_64 0
		.amdhsa_float_denorm_mode_32 3
		.amdhsa_float_denorm_mode_16_64 3
		.amdhsa_dx10_clamp 1
		.amdhsa_ieee_mode 1
		.amdhsa_fp16_overflow 0
		.amdhsa_tg_split 0
		.amdhsa_exception_fp_ieee_invalid_op 0
		.amdhsa_exception_fp_denorm_src 0
		.amdhsa_exception_fp_ieee_div_zero 0
		.amdhsa_exception_fp_ieee_overflow 0
		.amdhsa_exception_fp_ieee_underflow 0
		.amdhsa_exception_fp_ieee_inexact 0
		.amdhsa_exception_int_div_zero 0
	.end_amdhsa_kernel
	.section	.text._Z6kernelI18striped_to_blockedN15benchmark_utils11custom_typeIddEELj256ELj2ELj100EEvPKT0_PKjPS4_,"axG",@progbits,_Z6kernelI18striped_to_blockedN15benchmark_utils11custom_typeIddEELj256ELj2ELj100EEvPKT0_PKjPS4_,comdat
.Lfunc_end55:
	.size	_Z6kernelI18striped_to_blockedN15benchmark_utils11custom_typeIddEELj256ELj2ELj100EEvPKT0_PKjPS4_, .Lfunc_end55-_Z6kernelI18striped_to_blockedN15benchmark_utils11custom_typeIddEELj256ELj2ELj100EEvPKT0_PKjPS4_
                                        ; -- End function
	.section	.AMDGPU.csdata,"",@progbits
; Kernel info:
; codeLenInByte = 248
; NumSgprs: 11
; NumVgprs: 12
; NumAgprs: 0
; TotalNumVgprs: 12
; ScratchSize: 0
; MemoryBound: 0
; FloatMode: 240
; IeeeMode: 1
; LDSByteSize: 8448 bytes/workgroup (compile time only)
; SGPRBlocks: 1
; VGPRBlocks: 1
; NumSGPRsForWavesPerEU: 11
; NumVGPRsForWavesPerEU: 12
; AccumOffset: 12
; Occupancy: 7
; WaveLimiterHint : 1
; COMPUTE_PGM_RSRC2:SCRATCH_EN: 0
; COMPUTE_PGM_RSRC2:USER_SGPR: 6
; COMPUTE_PGM_RSRC2:TRAP_HANDLER: 0
; COMPUTE_PGM_RSRC2:TGID_X_EN: 1
; COMPUTE_PGM_RSRC2:TGID_Y_EN: 0
; COMPUTE_PGM_RSRC2:TGID_Z_EN: 0
; COMPUTE_PGM_RSRC2:TIDIG_COMP_CNT: 0
; COMPUTE_PGM_RSRC3_GFX90A:ACCUM_OFFSET: 2
; COMPUTE_PGM_RSRC3_GFX90A:TG_SPLIT: 0
	.section	.text._Z6kernelI18striped_to_blockedN15benchmark_utils11custom_typeIddEELj256ELj3ELj100EEvPKT0_PKjPS4_,"axG",@progbits,_Z6kernelI18striped_to_blockedN15benchmark_utils11custom_typeIddEELj256ELj3ELj100EEvPKT0_PKjPS4_,comdat
	.protected	_Z6kernelI18striped_to_blockedN15benchmark_utils11custom_typeIddEELj256ELj3ELj100EEvPKT0_PKjPS4_ ; -- Begin function _Z6kernelI18striped_to_blockedN15benchmark_utils11custom_typeIddEELj256ELj3ELj100EEvPKT0_PKjPS4_
	.globl	_Z6kernelI18striped_to_blockedN15benchmark_utils11custom_typeIddEELj256ELj3ELj100EEvPKT0_PKjPS4_
	.p2align	8
	.type	_Z6kernelI18striped_to_blockedN15benchmark_utils11custom_typeIddEELj256ELj3ELj100EEvPKT0_PKjPS4_,@function
_Z6kernelI18striped_to_blockedN15benchmark_utils11custom_typeIddEELj256ELj3ELj100EEvPKT0_PKjPS4_: ; @_Z6kernelI18striped_to_blockedN15benchmark_utils11custom_typeIddEELj256ELj3ELj100EEvPKT0_PKjPS4_
; %bb.0:
	s_load_dwordx2 s[2:3], s[4:5], 0x0
	s_mul_i32 s0, s6, 0x300
	s_mov_b32 s1, 0
	s_lshl_b64 s[0:1], s[0:1], 4
	v_lshlrev_b32_e32 v1, 4, v0
	s_waitcnt lgkmcnt(0)
	s_add_u32 s2, s2, s0
	s_addc_u32 s3, s3, s1
	v_mov_b32_e32 v2, s3
	v_add_co_u32_e32 v3, vcc, s2, v1
	v_addc_co_u32_e32 v2, vcc, 0, v2, vcc
	s_movk_i32 s6, 0x2000
	v_add_co_u32_e32 v14, vcc, s6, v3
	v_addc_co_u32_e32 v15, vcc, 0, v2, vcc
	global_load_dwordx4 v[10:13], v1, s[2:3]
	global_load_dwordx4 v[6:9], v[14:15], off offset:-4096
	global_load_dwordx4 v[2:5], v[14:15], off
	v_lshlrev_b32_e32 v14, 5, v0
	s_movk_i32 s2, 0x64
	v_add_u32_e32 v14, v1, v14
.LBB56_1:                               ; =>This Inner Loop Header: Depth=1
	s_waitcnt vmcnt(2)
	ds_write_b128 v1, v[10:13]
	s_waitcnt vmcnt(1)
	ds_write_b128 v1, v[6:9] offset:4096
	s_waitcnt vmcnt(0)
	ds_write_b128 v1, v[2:5] offset:8192
	s_waitcnt lgkmcnt(0)
	s_barrier
	ds_read_b128 v[10:13], v14
	ds_read_b128 v[6:9], v14 offset:16
	ds_read_b128 v[2:5], v14 offset:32
	s_add_i32 s2, s2, -1
	s_cmp_lg_u32 s2, 0
	s_waitcnt lgkmcnt(0)
	s_barrier
	s_cbranch_scc1 .LBB56_1
; %bb.2:
	s_load_dwordx2 s[2:3], s[4:5], 0x10
	v_mul_u32_u24_e32 v0, 3, v0
	v_lshlrev_b32_e32 v0, 4, v0
	s_waitcnt lgkmcnt(0)
	s_add_u32 s0, s2, s0
	s_addc_u32 s1, s3, s1
	global_store_dwordx4 v0, v[10:13], s[0:1]
	global_store_dwordx4 v0, v[6:9], s[0:1] offset:16
	global_store_dwordx4 v0, v[2:5], s[0:1] offset:32
	s_endpgm
	.section	.rodata,"a",@progbits
	.p2align	6, 0x0
	.amdhsa_kernel _Z6kernelI18striped_to_blockedN15benchmark_utils11custom_typeIddEELj256ELj3ELj100EEvPKT0_PKjPS4_
		.amdhsa_group_segment_fixed_size 12288
		.amdhsa_private_segment_fixed_size 0
		.amdhsa_kernarg_size 24
		.amdhsa_user_sgpr_count 6
		.amdhsa_user_sgpr_private_segment_buffer 1
		.amdhsa_user_sgpr_dispatch_ptr 0
		.amdhsa_user_sgpr_queue_ptr 0
		.amdhsa_user_sgpr_kernarg_segment_ptr 1
		.amdhsa_user_sgpr_dispatch_id 0
		.amdhsa_user_sgpr_flat_scratch_init 0
		.amdhsa_user_sgpr_kernarg_preload_length 0
		.amdhsa_user_sgpr_kernarg_preload_offset 0
		.amdhsa_user_sgpr_private_segment_size 0
		.amdhsa_uses_dynamic_stack 0
		.amdhsa_system_sgpr_private_segment_wavefront_offset 0
		.amdhsa_system_sgpr_workgroup_id_x 1
		.amdhsa_system_sgpr_workgroup_id_y 0
		.amdhsa_system_sgpr_workgroup_id_z 0
		.amdhsa_system_sgpr_workgroup_info 0
		.amdhsa_system_vgpr_workitem_id 0
		.amdhsa_next_free_vgpr 16
		.amdhsa_next_free_sgpr 7
		.amdhsa_accum_offset 16
		.amdhsa_reserve_vcc 1
		.amdhsa_reserve_flat_scratch 0
		.amdhsa_float_round_mode_32 0
		.amdhsa_float_round_mode_16_64 0
		.amdhsa_float_denorm_mode_32 3
		.amdhsa_float_denorm_mode_16_64 3
		.amdhsa_dx10_clamp 1
		.amdhsa_ieee_mode 1
		.amdhsa_fp16_overflow 0
		.amdhsa_tg_split 0
		.amdhsa_exception_fp_ieee_invalid_op 0
		.amdhsa_exception_fp_denorm_src 0
		.amdhsa_exception_fp_ieee_div_zero 0
		.amdhsa_exception_fp_ieee_overflow 0
		.amdhsa_exception_fp_ieee_underflow 0
		.amdhsa_exception_fp_ieee_inexact 0
		.amdhsa_exception_int_div_zero 0
	.end_amdhsa_kernel
	.section	.text._Z6kernelI18striped_to_blockedN15benchmark_utils11custom_typeIddEELj256ELj3ELj100EEvPKT0_PKjPS4_,"axG",@progbits,_Z6kernelI18striped_to_blockedN15benchmark_utils11custom_typeIddEELj256ELj3ELj100EEvPKT0_PKjPS4_,comdat
.Lfunc_end56:
	.size	_Z6kernelI18striped_to_blockedN15benchmark_utils11custom_typeIddEELj256ELj3ELj100EEvPKT0_PKjPS4_, .Lfunc_end56-_Z6kernelI18striped_to_blockedN15benchmark_utils11custom_typeIddEELj256ELj3ELj100EEvPKT0_PKjPS4_
                                        ; -- End function
	.section	.AMDGPU.csdata,"",@progbits
; Kernel info:
; codeLenInByte = 244
; NumSgprs: 11
; NumVgprs: 16
; NumAgprs: 0
; TotalNumVgprs: 16
; ScratchSize: 0
; MemoryBound: 0
; FloatMode: 240
; IeeeMode: 1
; LDSByteSize: 12288 bytes/workgroup (compile time only)
; SGPRBlocks: 1
; VGPRBlocks: 1
; NumSGPRsForWavesPerEU: 11
; NumVGPRsForWavesPerEU: 16
; AccumOffset: 16
; Occupancy: 5
; WaveLimiterHint : 1
; COMPUTE_PGM_RSRC2:SCRATCH_EN: 0
; COMPUTE_PGM_RSRC2:USER_SGPR: 6
; COMPUTE_PGM_RSRC2:TRAP_HANDLER: 0
; COMPUTE_PGM_RSRC2:TGID_X_EN: 1
; COMPUTE_PGM_RSRC2:TGID_Y_EN: 0
; COMPUTE_PGM_RSRC2:TGID_Z_EN: 0
; COMPUTE_PGM_RSRC2:TIDIG_COMP_CNT: 0
; COMPUTE_PGM_RSRC3_GFX90A:ACCUM_OFFSET: 3
; COMPUTE_PGM_RSRC3_GFX90A:TG_SPLIT: 0
	.section	.text._Z6kernelI18striped_to_blockedN15benchmark_utils11custom_typeIddEELj256ELj4ELj100EEvPKT0_PKjPS4_,"axG",@progbits,_Z6kernelI18striped_to_blockedN15benchmark_utils11custom_typeIddEELj256ELj4ELj100EEvPKT0_PKjPS4_,comdat
	.protected	_Z6kernelI18striped_to_blockedN15benchmark_utils11custom_typeIddEELj256ELj4ELj100EEvPKT0_PKjPS4_ ; -- Begin function _Z6kernelI18striped_to_blockedN15benchmark_utils11custom_typeIddEELj256ELj4ELj100EEvPKT0_PKjPS4_
	.globl	_Z6kernelI18striped_to_blockedN15benchmark_utils11custom_typeIddEELj256ELj4ELj100EEvPKT0_PKjPS4_
	.p2align	8
	.type	_Z6kernelI18striped_to_blockedN15benchmark_utils11custom_typeIddEELj256ELj4ELj100EEvPKT0_PKjPS4_,@function
_Z6kernelI18striped_to_blockedN15benchmark_utils11custom_typeIddEELj256ELj4ELj100EEvPKT0_PKjPS4_: ; @_Z6kernelI18striped_to_blockedN15benchmark_utils11custom_typeIddEELj256ELj4ELj100EEvPKT0_PKjPS4_
; %bb.0:
	s_load_dwordx2 s[2:3], s[4:5], 0x0
	s_lshl_b32 s0, s6, 10
	s_mov_b32 s1, 0
	s_lshl_b64 s[0:1], s[0:1], 4
	v_lshlrev_b32_e32 v21, 4, v0
	s_waitcnt lgkmcnt(0)
	s_add_u32 s2, s2, s0
	s_addc_u32 s3, s3, s1
	v_mov_b32_e32 v1, s3
	v_add_co_u32_e32 v12, vcc, s2, v21
	v_addc_co_u32_e32 v1, vcc, 0, v1, vcc
	s_movk_i32 s6, 0x2000
	v_add_co_u32_e32 v10, vcc, s6, v12
	v_addc_co_u32_e32 v11, vcc, 0, v1, vcc
	s_movk_i32 s6, 0x3000
	v_add_co_u32_e32 v18, vcc, s6, v12
	global_load_dwordx4 v[6:9], v[10:11], off offset:-4096
	global_load_dwordx4 v[2:5], v[10:11], off
	v_addc_co_u32_e32 v19, vcc, 0, v1, vcc
	global_load_dwordx4 v[14:17], v21, s[2:3]
	global_load_dwordx4 v[10:13], v[18:19], off
	v_or_b32_e32 v19, 0x200, v0
	v_lshrrev_b32_e32 v19, 1, v19
	v_and_b32_e32 v19, 0x170, v19
	v_or_b32_e32 v18, 0x100, v0
	v_add_u32_e32 v20, v19, v21
	v_or_b32_e32 v19, 0x300, v0
	v_lshrrev_b32_e32 v1, 1, v0
	v_lshrrev_b32_e32 v18, 1, v18
	;; [unrolled: 1-line block ×3, first 2 shown]
	v_and_b32_e32 v1, 0x70, v1
	v_and_b32_e32 v18, 0xf0, v18
	;; [unrolled: 1-line block ×3, first 2 shown]
	v_add_u32_e32 v1, v1, v21
	v_add_u32_e32 v18, v18, v21
	;; [unrolled: 1-line block ×3, first 2 shown]
	v_lshlrev_b32_e32 v19, 2, v0
	v_lshrrev_b32_e32 v0, 3, v0
	v_add_lshl_u32 v0, v0, v19, 4
	s_movk_i32 s2, 0x64
.LBB57_1:                               ; =>This Inner Loop Header: Depth=1
	s_waitcnt vmcnt(1)
	ds_write_b128 v1, v[14:17]
	ds_write_b128 v18, v[6:9] offset:4096
	ds_write_b128 v20, v[2:5] offset:8192
	s_waitcnt vmcnt(0)
	ds_write_b128 v21, v[10:13] offset:12288
	s_waitcnt lgkmcnt(0)
	s_barrier
	ds_read_b128 v[14:17], v0
	ds_read_b128 v[6:9], v0 offset:16
	ds_read_b128 v[2:5], v0 offset:32
	;; [unrolled: 1-line block ×3, first 2 shown]
	s_add_i32 s2, s2, -1
	s_cmp_lg_u32 s2, 0
	s_waitcnt lgkmcnt(0)
	s_barrier
	s_cbranch_scc1 .LBB57_1
; %bb.2:
	s_load_dwordx2 s[2:3], s[4:5], 0x10
	v_lshlrev_b32_e32 v0, 4, v19
	s_waitcnt lgkmcnt(0)
	s_add_u32 s0, s2, s0
	s_addc_u32 s1, s3, s1
	global_store_dwordx4 v0, v[14:17], s[0:1]
	global_store_dwordx4 v0, v[6:9], s[0:1] offset:16
	global_store_dwordx4 v0, v[2:5], s[0:1] offset:32
	;; [unrolled: 1-line block ×3, first 2 shown]
	s_endpgm
	.section	.rodata,"a",@progbits
	.p2align	6, 0x0
	.amdhsa_kernel _Z6kernelI18striped_to_blockedN15benchmark_utils11custom_typeIddEELj256ELj4ELj100EEvPKT0_PKjPS4_
		.amdhsa_group_segment_fixed_size 16896
		.amdhsa_private_segment_fixed_size 0
		.amdhsa_kernarg_size 24
		.amdhsa_user_sgpr_count 6
		.amdhsa_user_sgpr_private_segment_buffer 1
		.amdhsa_user_sgpr_dispatch_ptr 0
		.amdhsa_user_sgpr_queue_ptr 0
		.amdhsa_user_sgpr_kernarg_segment_ptr 1
		.amdhsa_user_sgpr_dispatch_id 0
		.amdhsa_user_sgpr_flat_scratch_init 0
		.amdhsa_user_sgpr_kernarg_preload_length 0
		.amdhsa_user_sgpr_kernarg_preload_offset 0
		.amdhsa_user_sgpr_private_segment_size 0
		.amdhsa_uses_dynamic_stack 0
		.amdhsa_system_sgpr_private_segment_wavefront_offset 0
		.amdhsa_system_sgpr_workgroup_id_x 1
		.amdhsa_system_sgpr_workgroup_id_y 0
		.amdhsa_system_sgpr_workgroup_id_z 0
		.amdhsa_system_sgpr_workgroup_info 0
		.amdhsa_system_vgpr_workitem_id 0
		.amdhsa_next_free_vgpr 22
		.amdhsa_next_free_sgpr 7
		.amdhsa_accum_offset 24
		.amdhsa_reserve_vcc 1
		.amdhsa_reserve_flat_scratch 0
		.amdhsa_float_round_mode_32 0
		.amdhsa_float_round_mode_16_64 0
		.amdhsa_float_denorm_mode_32 3
		.amdhsa_float_denorm_mode_16_64 3
		.amdhsa_dx10_clamp 1
		.amdhsa_ieee_mode 1
		.amdhsa_fp16_overflow 0
		.amdhsa_tg_split 0
		.amdhsa_exception_fp_ieee_invalid_op 0
		.amdhsa_exception_fp_denorm_src 0
		.amdhsa_exception_fp_ieee_div_zero 0
		.amdhsa_exception_fp_ieee_overflow 0
		.amdhsa_exception_fp_ieee_underflow 0
		.amdhsa_exception_fp_ieee_inexact 0
		.amdhsa_exception_int_div_zero 0
	.end_amdhsa_kernel
	.section	.text._Z6kernelI18striped_to_blockedN15benchmark_utils11custom_typeIddEELj256ELj4ELj100EEvPKT0_PKjPS4_,"axG",@progbits,_Z6kernelI18striped_to_blockedN15benchmark_utils11custom_typeIddEELj256ELj4ELj100EEvPKT0_PKjPS4_,comdat
.Lfunc_end57:
	.size	_Z6kernelI18striped_to_blockedN15benchmark_utils11custom_typeIddEELj256ELj4ELj100EEvPKT0_PKjPS4_, .Lfunc_end57-_Z6kernelI18striped_to_blockedN15benchmark_utils11custom_typeIddEELj256ELj4ELj100EEvPKT0_PKjPS4_
                                        ; -- End function
	.section	.AMDGPU.csdata,"",@progbits
; Kernel info:
; codeLenInByte = 372
; NumSgprs: 11
; NumVgprs: 22
; NumAgprs: 0
; TotalNumVgprs: 22
; ScratchSize: 0
; MemoryBound: 0
; FloatMode: 240
; IeeeMode: 1
; LDSByteSize: 16896 bytes/workgroup (compile time only)
; SGPRBlocks: 1
; VGPRBlocks: 2
; NumSGPRsForWavesPerEU: 11
; NumVGPRsForWavesPerEU: 22
; AccumOffset: 24
; Occupancy: 3
; WaveLimiterHint : 1
; COMPUTE_PGM_RSRC2:SCRATCH_EN: 0
; COMPUTE_PGM_RSRC2:USER_SGPR: 6
; COMPUTE_PGM_RSRC2:TRAP_HANDLER: 0
; COMPUTE_PGM_RSRC2:TGID_X_EN: 1
; COMPUTE_PGM_RSRC2:TGID_Y_EN: 0
; COMPUTE_PGM_RSRC2:TGID_Z_EN: 0
; COMPUTE_PGM_RSRC2:TIDIG_COMP_CNT: 0
; COMPUTE_PGM_RSRC3_GFX90A:ACCUM_OFFSET: 5
; COMPUTE_PGM_RSRC3_GFX90A:TG_SPLIT: 0
	.section	.text._Z6kernelI18striped_to_blockedN15benchmark_utils11custom_typeIddEELj256ELj7ELj100EEvPKT0_PKjPS4_,"axG",@progbits,_Z6kernelI18striped_to_blockedN15benchmark_utils11custom_typeIddEELj256ELj7ELj100EEvPKT0_PKjPS4_,comdat
	.protected	_Z6kernelI18striped_to_blockedN15benchmark_utils11custom_typeIddEELj256ELj7ELj100EEvPKT0_PKjPS4_ ; -- Begin function _Z6kernelI18striped_to_blockedN15benchmark_utils11custom_typeIddEELj256ELj7ELj100EEvPKT0_PKjPS4_
	.globl	_Z6kernelI18striped_to_blockedN15benchmark_utils11custom_typeIddEELj256ELj7ELj100EEvPKT0_PKjPS4_
	.p2align	8
	.type	_Z6kernelI18striped_to_blockedN15benchmark_utils11custom_typeIddEELj256ELj7ELj100EEvPKT0_PKjPS4_,@function
_Z6kernelI18striped_to_blockedN15benchmark_utils11custom_typeIddEELj256ELj7ELj100EEvPKT0_PKjPS4_: ; @_Z6kernelI18striped_to_blockedN15benchmark_utils11custom_typeIddEELj256ELj7ELj100EEvPKT0_PKjPS4_
; %bb.0:
	s_load_dwordx2 s[2:3], s[4:5], 0x0
	s_mul_i32 s0, s6, 0x700
	s_mov_b32 s1, 0
	s_lshl_b64 s[0:1], s[0:1], 4
	v_lshlrev_b32_e32 v1, 4, v0
	s_waitcnt lgkmcnt(0)
	s_add_u32 s2, s2, s0
	s_addc_u32 s3, s3, s1
	v_mov_b32_e32 v2, s3
	v_add_co_u32_e32 v20, vcc, s2, v1
	v_addc_co_u32_e32 v21, vcc, 0, v2, vcc
	s_movk_i32 s6, 0x2000
	v_add_co_u32_e32 v18, vcc, s6, v20
	v_addc_co_u32_e32 v19, vcc, 0, v21, vcc
	global_load_dwordx4 v[10:13], v1, s[2:3]
	global_load_dwordx4 v[2:5], v[18:19], off offset:-4096
	s_movk_i32 s2, 0x4000
	v_add_co_u32_e32 v30, vcc, s2, v20
	v_addc_co_u32_e32 v31, vcc, 0, v21, vcc
	s_movk_i32 s2, 0x6000
	v_add_co_u32_e32 v32, vcc, s2, v20
	global_load_dwordx4 v[14:17], v[18:19], off
	global_load_dwordx4 v[6:9], v[30:31], off offset:-4096
	v_addc_co_u32_e32 v33, vcc, 0, v21, vcc
	global_load_dwordx4 v[22:25], v[30:31], off
	global_load_dwordx4 v[18:21], v[32:33], off offset:-4096
	global_load_dwordx4 v[26:29], v[32:33], off
	v_mul_u32_u24_e32 v30, 0x60, v0
	s_movk_i32 s2, 0x64
	v_add_u32_e32 v30, v1, v30
.LBB58_1:                               ; =>This Inner Loop Header: Depth=1
	s_waitcnt vmcnt(6)
	ds_write_b128 v1, v[10:13]
	s_waitcnt vmcnt(5)
	ds_write_b128 v1, v[2:5] offset:4096
	s_waitcnt vmcnt(4)
	ds_write_b128 v1, v[14:17] offset:8192
	;; [unrolled: 2-line block ×6, first 2 shown]
	s_waitcnt lgkmcnt(0)
	s_barrier
	ds_read_b128 v[10:13], v30
	ds_read_b128 v[2:5], v30 offset:16
	ds_read_b128 v[14:17], v30 offset:32
	;; [unrolled: 1-line block ×6, first 2 shown]
	s_add_i32 s2, s2, -1
	s_cmp_lg_u32 s2, 0
	s_waitcnt lgkmcnt(0)
	s_barrier
	s_cbranch_scc1 .LBB58_1
; %bb.2:
	s_load_dwordx2 s[2:3], s[4:5], 0x10
	v_mul_u32_u24_e32 v0, 7, v0
	v_lshlrev_b32_e32 v0, 4, v0
	s_waitcnt lgkmcnt(0)
	s_add_u32 s0, s2, s0
	s_addc_u32 s1, s3, s1
	global_store_dwordx4 v0, v[10:13], s[0:1]
	global_store_dwordx4 v0, v[2:5], s[0:1] offset:16
	global_store_dwordx4 v0, v[14:17], s[0:1] offset:32
	;; [unrolled: 1-line block ×6, first 2 shown]
	s_endpgm
	.section	.rodata,"a",@progbits
	.p2align	6, 0x0
	.amdhsa_kernel _Z6kernelI18striped_to_blockedN15benchmark_utils11custom_typeIddEELj256ELj7ELj100EEvPKT0_PKjPS4_
		.amdhsa_group_segment_fixed_size 28672
		.amdhsa_private_segment_fixed_size 0
		.amdhsa_kernarg_size 24
		.amdhsa_user_sgpr_count 6
		.amdhsa_user_sgpr_private_segment_buffer 1
		.amdhsa_user_sgpr_dispatch_ptr 0
		.amdhsa_user_sgpr_queue_ptr 0
		.amdhsa_user_sgpr_kernarg_segment_ptr 1
		.amdhsa_user_sgpr_dispatch_id 0
		.amdhsa_user_sgpr_flat_scratch_init 0
		.amdhsa_user_sgpr_kernarg_preload_length 0
		.amdhsa_user_sgpr_kernarg_preload_offset 0
		.amdhsa_user_sgpr_private_segment_size 0
		.amdhsa_uses_dynamic_stack 0
		.amdhsa_system_sgpr_private_segment_wavefront_offset 0
		.amdhsa_system_sgpr_workgroup_id_x 1
		.amdhsa_system_sgpr_workgroup_id_y 0
		.amdhsa_system_sgpr_workgroup_id_z 0
		.amdhsa_system_sgpr_workgroup_info 0
		.amdhsa_system_vgpr_workitem_id 0
		.amdhsa_next_free_vgpr 34
		.amdhsa_next_free_sgpr 7
		.amdhsa_accum_offset 36
		.amdhsa_reserve_vcc 1
		.amdhsa_reserve_flat_scratch 0
		.amdhsa_float_round_mode_32 0
		.amdhsa_float_round_mode_16_64 0
		.amdhsa_float_denorm_mode_32 3
		.amdhsa_float_denorm_mode_16_64 3
		.amdhsa_dx10_clamp 1
		.amdhsa_ieee_mode 1
		.amdhsa_fp16_overflow 0
		.amdhsa_tg_split 0
		.amdhsa_exception_fp_ieee_invalid_op 0
		.amdhsa_exception_fp_denorm_src 0
		.amdhsa_exception_fp_ieee_div_zero 0
		.amdhsa_exception_fp_ieee_overflow 0
		.amdhsa_exception_fp_ieee_underflow 0
		.amdhsa_exception_fp_ieee_inexact 0
		.amdhsa_exception_int_div_zero 0
	.end_amdhsa_kernel
	.section	.text._Z6kernelI18striped_to_blockedN15benchmark_utils11custom_typeIddEELj256ELj7ELj100EEvPKT0_PKjPS4_,"axG",@progbits,_Z6kernelI18striped_to_blockedN15benchmark_utils11custom_typeIddEELj256ELj7ELj100EEvPKT0_PKjPS4_,comdat
.Lfunc_end58:
	.size	_Z6kernelI18striped_to_blockedN15benchmark_utils11custom_typeIddEELj256ELj7ELj100EEvPKT0_PKjPS4_, .Lfunc_end58-_Z6kernelI18striped_to_blockedN15benchmark_utils11custom_typeIddEELj256ELj7ELj100EEvPKT0_PKjPS4_
                                        ; -- End function
	.section	.AMDGPU.csdata,"",@progbits
; Kernel info:
; codeLenInByte = 416
; NumSgprs: 11
; NumVgprs: 34
; NumAgprs: 0
; TotalNumVgprs: 34
; ScratchSize: 0
; MemoryBound: 1
; FloatMode: 240
; IeeeMode: 1
; LDSByteSize: 28672 bytes/workgroup (compile time only)
; SGPRBlocks: 1
; VGPRBlocks: 4
; NumSGPRsForWavesPerEU: 11
; NumVGPRsForWavesPerEU: 34
; AccumOffset: 36
; Occupancy: 2
; WaveLimiterHint : 1
; COMPUTE_PGM_RSRC2:SCRATCH_EN: 0
; COMPUTE_PGM_RSRC2:USER_SGPR: 6
; COMPUTE_PGM_RSRC2:TRAP_HANDLER: 0
; COMPUTE_PGM_RSRC2:TGID_X_EN: 1
; COMPUTE_PGM_RSRC2:TGID_Y_EN: 0
; COMPUTE_PGM_RSRC2:TGID_Z_EN: 0
; COMPUTE_PGM_RSRC2:TIDIG_COMP_CNT: 0
; COMPUTE_PGM_RSRC3_GFX90A:ACCUM_OFFSET: 8
; COMPUTE_PGM_RSRC3_GFX90A:TG_SPLIT: 0
	.section	.text._Z6kernelI18striped_to_blockedN15benchmark_utils11custom_typeIddEELj256ELj8ELj100EEvPKT0_PKjPS4_,"axG",@progbits,_Z6kernelI18striped_to_blockedN15benchmark_utils11custom_typeIddEELj256ELj8ELj100EEvPKT0_PKjPS4_,comdat
	.protected	_Z6kernelI18striped_to_blockedN15benchmark_utils11custom_typeIddEELj256ELj8ELj100EEvPKT0_PKjPS4_ ; -- Begin function _Z6kernelI18striped_to_blockedN15benchmark_utils11custom_typeIddEELj256ELj8ELj100EEvPKT0_PKjPS4_
	.globl	_Z6kernelI18striped_to_blockedN15benchmark_utils11custom_typeIddEELj256ELj8ELj100EEvPKT0_PKjPS4_
	.p2align	8
	.type	_Z6kernelI18striped_to_blockedN15benchmark_utils11custom_typeIddEELj256ELj8ELj100EEvPKT0_PKjPS4_,@function
_Z6kernelI18striped_to_blockedN15benchmark_utils11custom_typeIddEELj256ELj8ELj100EEvPKT0_PKjPS4_: ; @_Z6kernelI18striped_to_blockedN15benchmark_utils11custom_typeIddEELj256ELj8ELj100EEvPKT0_PKjPS4_
; %bb.0:
	s_load_dwordx2 s[2:3], s[4:5], 0x0
	s_lshl_b32 s0, s6, 11
	s_mov_b32 s1, 0
	s_lshl_b64 s[0:1], s[0:1], 4
	v_lshlrev_b32_e32 v39, 4, v0
	s_waitcnt lgkmcnt(0)
	s_add_u32 s2, s2, s0
	s_addc_u32 s3, s3, s1
	v_mov_b32_e32 v1, s3
	v_add_co_u32_e32 v28, vcc, s2, v39
	v_addc_co_u32_e32 v1, vcc, 0, v1, vcc
	s_movk_i32 s6, 0x2000
	v_add_co_u32_e32 v10, vcc, s6, v28
	v_addc_co_u32_e32 v11, vcc, 0, v1, vcc
	s_movk_i32 s6, 0x4000
	v_add_co_u32_e32 v18, vcc, s6, v28
	v_addc_co_u32_e32 v19, vcc, 0, v1, vcc
	s_movk_i32 s6, 0x6000
	v_add_co_u32_e32 v26, vcc, s6, v28
	v_addc_co_u32_e32 v27, vcc, 0, v1, vcc
	s_movk_i32 s6, 0x7000
	v_add_co_u32_e32 v34, vcc, s6, v28
	global_load_dwordx4 v[6:9], v[10:11], off offset:-4096
	global_load_dwordx4 v[2:5], v[10:11], off
	s_nop 0
	global_load_dwordx4 v[10:13], v[18:19], off offset:-4096
	global_load_dwordx4 v[14:17], v[18:19], off
	s_nop 0
	global_load_dwordx4 v[18:21], v[26:27], off offset:-4096
	global_load_dwordx4 v[22:25], v[26:27], off
	v_addc_co_u32_e32 v35, vcc, 0, v1, vcc
	global_load_dwordx4 v[30:33], v39, s[2:3]
	global_load_dwordx4 v[26:29], v[34:35], off
	v_or_b32_e32 v34, 0x100, v0
	v_or_b32_e32 v35, 0x200, v0
	;; [unrolled: 1-line block ×7, first 2 shown]
	v_lshrrev_b32_e32 v1, 1, v0
	v_lshrrev_b32_e32 v34, 1, v34
	;; [unrolled: 1-line block ×8, first 2 shown]
	v_and_b32_e32 v1, 0x70, v1
	v_and_b32_e32 v34, 0xf0, v34
	;; [unrolled: 1-line block ×8, first 2 shown]
	v_add_u32_e32 v1, v1, v39
	v_add_u32_e32 v34, v34, v39
	;; [unrolled: 1-line block ×8, first 2 shown]
	v_lshlrev_b32_e32 v39, 3, v0
	v_lshrrev_b32_e32 v0, 2, v0
	v_add_lshl_u32 v0, v0, v39, 4
	s_movk_i32 s2, 0x64
.LBB59_1:                               ; =>This Inner Loop Header: Depth=1
	s_waitcnt vmcnt(1)
	ds_write_b128 v1, v[30:33]
	ds_write_b128 v34, v[6:9] offset:4096
	ds_write_b128 v35, v[2:5] offset:8192
	;; [unrolled: 1-line block ×6, first 2 shown]
	s_waitcnt vmcnt(0)
	ds_write_b128 v41, v[26:29] offset:28672
	s_waitcnt lgkmcnt(0)
	s_barrier
	ds_read_b128 v[30:33], v0
	ds_read_b128 v[6:9], v0 offset:16
	ds_read_b128 v[2:5], v0 offset:32
	;; [unrolled: 1-line block ×7, first 2 shown]
	s_add_i32 s2, s2, -1
	s_cmp_lg_u32 s2, 0
	s_waitcnt lgkmcnt(0)
	s_barrier
	s_cbranch_scc1 .LBB59_1
; %bb.2:
	s_load_dwordx2 s[2:3], s[4:5], 0x10
	v_lshlrev_b32_e32 v0, 4, v39
	s_waitcnt lgkmcnt(0)
	s_add_u32 s0, s2, s0
	s_addc_u32 s1, s3, s1
	global_store_dwordx4 v0, v[30:33], s[0:1]
	global_store_dwordx4 v0, v[6:9], s[0:1] offset:16
	global_store_dwordx4 v0, v[2:5], s[0:1] offset:32
	;; [unrolled: 1-line block ×7, first 2 shown]
	s_endpgm
	.section	.rodata,"a",@progbits
	.p2align	6, 0x0
	.amdhsa_kernel _Z6kernelI18striped_to_blockedN15benchmark_utils11custom_typeIddEELj256ELj8ELj100EEvPKT0_PKjPS4_
		.amdhsa_group_segment_fixed_size 33792
		.amdhsa_private_segment_fixed_size 0
		.amdhsa_kernarg_size 24
		.amdhsa_user_sgpr_count 6
		.amdhsa_user_sgpr_private_segment_buffer 1
		.amdhsa_user_sgpr_dispatch_ptr 0
		.amdhsa_user_sgpr_queue_ptr 0
		.amdhsa_user_sgpr_kernarg_segment_ptr 1
		.amdhsa_user_sgpr_dispatch_id 0
		.amdhsa_user_sgpr_flat_scratch_init 0
		.amdhsa_user_sgpr_kernarg_preload_length 0
		.amdhsa_user_sgpr_kernarg_preload_offset 0
		.amdhsa_user_sgpr_private_segment_size 0
		.amdhsa_uses_dynamic_stack 0
		.amdhsa_system_sgpr_private_segment_wavefront_offset 0
		.amdhsa_system_sgpr_workgroup_id_x 1
		.amdhsa_system_sgpr_workgroup_id_y 0
		.amdhsa_system_sgpr_workgroup_id_z 0
		.amdhsa_system_sgpr_workgroup_info 0
		.amdhsa_system_vgpr_workitem_id 0
		.amdhsa_next_free_vgpr 42
		.amdhsa_next_free_sgpr 7
		.amdhsa_accum_offset 44
		.amdhsa_reserve_vcc 1
		.amdhsa_reserve_flat_scratch 0
		.amdhsa_float_round_mode_32 0
		.amdhsa_float_round_mode_16_64 0
		.amdhsa_float_denorm_mode_32 3
		.amdhsa_float_denorm_mode_16_64 3
		.amdhsa_dx10_clamp 1
		.amdhsa_ieee_mode 1
		.amdhsa_fp16_overflow 0
		.amdhsa_tg_split 0
		.amdhsa_exception_fp_ieee_invalid_op 0
		.amdhsa_exception_fp_denorm_src 0
		.amdhsa_exception_fp_ieee_div_zero 0
		.amdhsa_exception_fp_ieee_overflow 0
		.amdhsa_exception_fp_ieee_underflow 0
		.amdhsa_exception_fp_ieee_inexact 0
		.amdhsa_exception_int_div_zero 0
	.end_amdhsa_kernel
	.section	.text._Z6kernelI18striped_to_blockedN15benchmark_utils11custom_typeIddEELj256ELj8ELj100EEvPKT0_PKjPS4_,"axG",@progbits,_Z6kernelI18striped_to_blockedN15benchmark_utils11custom_typeIddEELj256ELj8ELj100EEvPKT0_PKjPS4_,comdat
.Lfunc_end59:
	.size	_Z6kernelI18striped_to_blockedN15benchmark_utils11custom_typeIddEELj256ELj8ELj100EEvPKT0_PKjPS4_, .Lfunc_end59-_Z6kernelI18striped_to_blockedN15benchmark_utils11custom_typeIddEELj256ELj8ELj100EEvPKT0_PKjPS4_
                                        ; -- End function
	.section	.AMDGPU.csdata,"",@progbits
; Kernel info:
; codeLenInByte = 628
; NumSgprs: 11
; NumVgprs: 42
; NumAgprs: 0
; TotalNumVgprs: 42
; ScratchSize: 0
; MemoryBound: 0
; FloatMode: 240
; IeeeMode: 1
; LDSByteSize: 33792 bytes/workgroup (compile time only)
; SGPRBlocks: 1
; VGPRBlocks: 5
; NumSGPRsForWavesPerEU: 11
; NumVGPRsForWavesPerEU: 42
; AccumOffset: 44
; Occupancy: 1
; WaveLimiterHint : 1
; COMPUTE_PGM_RSRC2:SCRATCH_EN: 0
; COMPUTE_PGM_RSRC2:USER_SGPR: 6
; COMPUTE_PGM_RSRC2:TRAP_HANDLER: 0
; COMPUTE_PGM_RSRC2:TGID_X_EN: 1
; COMPUTE_PGM_RSRC2:TGID_Y_EN: 0
; COMPUTE_PGM_RSRC2:TGID_Z_EN: 0
; COMPUTE_PGM_RSRC2:TIDIG_COMP_CNT: 0
; COMPUTE_PGM_RSRC3_GFX90A:ACCUM_OFFSET: 10
; COMPUTE_PGM_RSRC3_GFX90A:TG_SPLIT: 0
	.section	.text._Z6kernelI23blocked_to_warp_stripediLj256ELj1ELj100EEvPKT0_PKjPS1_,"axG",@progbits,_Z6kernelI23blocked_to_warp_stripediLj256ELj1ELj100EEvPKT0_PKjPS1_,comdat
	.protected	_Z6kernelI23blocked_to_warp_stripediLj256ELj1ELj100EEvPKT0_PKjPS1_ ; -- Begin function _Z6kernelI23blocked_to_warp_stripediLj256ELj1ELj100EEvPKT0_PKjPS1_
	.globl	_Z6kernelI23blocked_to_warp_stripediLj256ELj1ELj100EEvPKT0_PKjPS1_
	.p2align	8
	.type	_Z6kernelI23blocked_to_warp_stripediLj256ELj1ELj100EEvPKT0_PKjPS1_,@function
_Z6kernelI23blocked_to_warp_stripediLj256ELj1ELj100EEvPKT0_PKjPS1_: ; @_Z6kernelI23blocked_to_warp_stripediLj256ELj1ELj100EEvPKT0_PKjPS1_
; %bb.0:
	s_load_dwordx2 s[2:3], s[4:5], 0x0
	s_lshl_b32 s0, s6, 8
	s_mov_b32 s1, 0
	s_lshl_b64 s[0:1], s[0:1], 2
	v_lshlrev_b32_e32 v1, 2, v0
	s_waitcnt lgkmcnt(0)
	s_add_u32 s2, s2, s0
	s_addc_u32 s3, s3, s1
	global_load_dword v1, v1, s[2:3]
	v_mbcnt_lo_u32_b32 v2, -1, 0
	v_and_b32_e32 v0, 0xc0, v0
	v_mbcnt_hi_u32_b32 v2, -1, v2
	v_lshlrev_b32_e32 v0, 2, v0
	v_lshl_add_u32 v3, v2, 2, v0
	s_movk_i32 s2, 0x64
.LBB60_1:                               ; =>This Inner Loop Header: Depth=1
	s_waitcnt vmcnt(0)
	ds_write_b32 v3, v1
	; wave barrier
	ds_read_b32 v1, v3
	s_add_i32 s2, s2, -1
	s_cmp_lg_u32 s2, 0
	s_waitcnt lgkmcnt(0)
	s_barrier
	s_cbranch_scc1 .LBB60_1
; %bb.2:
	s_load_dwordx2 s[2:3], s[4:5], 0x10
	v_lshlrev_b32_e32 v2, 2, v2
	s_waitcnt lgkmcnt(0)
	s_add_u32 s0, s2, s0
	s_addc_u32 s1, s3, s1
	v_mov_b32_e32 v3, s1
	v_add_co_u32_e32 v2, vcc, s0, v2
	v_addc_co_u32_e32 v3, vcc, 0, v3, vcc
	v_add_co_u32_e32 v2, vcc, v2, v0
	v_addc_co_u32_e32 v3, vcc, 0, v3, vcc
	global_store_dword v[2:3], v1, off
	s_endpgm
	.section	.rodata,"a",@progbits
	.p2align	6, 0x0
	.amdhsa_kernel _Z6kernelI23blocked_to_warp_stripediLj256ELj1ELj100EEvPKT0_PKjPS1_
		.amdhsa_group_segment_fixed_size 1024
		.amdhsa_private_segment_fixed_size 0
		.amdhsa_kernarg_size 24
		.amdhsa_user_sgpr_count 6
		.amdhsa_user_sgpr_private_segment_buffer 1
		.amdhsa_user_sgpr_dispatch_ptr 0
		.amdhsa_user_sgpr_queue_ptr 0
		.amdhsa_user_sgpr_kernarg_segment_ptr 1
		.amdhsa_user_sgpr_dispatch_id 0
		.amdhsa_user_sgpr_flat_scratch_init 0
		.amdhsa_user_sgpr_kernarg_preload_length 0
		.amdhsa_user_sgpr_kernarg_preload_offset 0
		.amdhsa_user_sgpr_private_segment_size 0
		.amdhsa_uses_dynamic_stack 0
		.amdhsa_system_sgpr_private_segment_wavefront_offset 0
		.amdhsa_system_sgpr_workgroup_id_x 1
		.amdhsa_system_sgpr_workgroup_id_y 0
		.amdhsa_system_sgpr_workgroup_id_z 0
		.amdhsa_system_sgpr_workgroup_info 0
		.amdhsa_system_vgpr_workitem_id 0
		.amdhsa_next_free_vgpr 4
		.amdhsa_next_free_sgpr 7
		.amdhsa_accum_offset 4
		.amdhsa_reserve_vcc 1
		.amdhsa_reserve_flat_scratch 0
		.amdhsa_float_round_mode_32 0
		.amdhsa_float_round_mode_16_64 0
		.amdhsa_float_denorm_mode_32 3
		.amdhsa_float_denorm_mode_16_64 3
		.amdhsa_dx10_clamp 1
		.amdhsa_ieee_mode 1
		.amdhsa_fp16_overflow 0
		.amdhsa_tg_split 0
		.amdhsa_exception_fp_ieee_invalid_op 0
		.amdhsa_exception_fp_denorm_src 0
		.amdhsa_exception_fp_ieee_div_zero 0
		.amdhsa_exception_fp_ieee_overflow 0
		.amdhsa_exception_fp_ieee_underflow 0
		.amdhsa_exception_fp_ieee_inexact 0
		.amdhsa_exception_int_div_zero 0
	.end_amdhsa_kernel
	.section	.text._Z6kernelI23blocked_to_warp_stripediLj256ELj1ELj100EEvPKT0_PKjPS1_,"axG",@progbits,_Z6kernelI23blocked_to_warp_stripediLj256ELj1ELj100EEvPKT0_PKjPS1_,comdat
.Lfunc_end60:
	.size	_Z6kernelI23blocked_to_warp_stripediLj256ELj1ELj100EEvPKT0_PKjPS1_, .Lfunc_end60-_Z6kernelI23blocked_to_warp_stripediLj256ELj1ELj100EEvPKT0_PKjPS1_
                                        ; -- End function
	.section	.AMDGPU.csdata,"",@progbits
; Kernel info:
; codeLenInByte = 180
; NumSgprs: 11
; NumVgprs: 4
; NumAgprs: 0
; TotalNumVgprs: 4
; ScratchSize: 0
; MemoryBound: 0
; FloatMode: 240
; IeeeMode: 1
; LDSByteSize: 1024 bytes/workgroup (compile time only)
; SGPRBlocks: 1
; VGPRBlocks: 0
; NumSGPRsForWavesPerEU: 11
; NumVGPRsForWavesPerEU: 4
; AccumOffset: 4
; Occupancy: 8
; WaveLimiterHint : 0
; COMPUTE_PGM_RSRC2:SCRATCH_EN: 0
; COMPUTE_PGM_RSRC2:USER_SGPR: 6
; COMPUTE_PGM_RSRC2:TRAP_HANDLER: 0
; COMPUTE_PGM_RSRC2:TGID_X_EN: 1
; COMPUTE_PGM_RSRC2:TGID_Y_EN: 0
; COMPUTE_PGM_RSRC2:TGID_Z_EN: 0
; COMPUTE_PGM_RSRC2:TIDIG_COMP_CNT: 0
; COMPUTE_PGM_RSRC3_GFX90A:ACCUM_OFFSET: 0
; COMPUTE_PGM_RSRC3_GFX90A:TG_SPLIT: 0
	.section	.text._Z6kernelI23blocked_to_warp_stripediLj256ELj2ELj100EEvPKT0_PKjPS1_,"axG",@progbits,_Z6kernelI23blocked_to_warp_stripediLj256ELj2ELj100EEvPKT0_PKjPS1_,comdat
	.protected	_Z6kernelI23blocked_to_warp_stripediLj256ELj2ELj100EEvPKT0_PKjPS1_ ; -- Begin function _Z6kernelI23blocked_to_warp_stripediLj256ELj2ELj100EEvPKT0_PKjPS1_
	.globl	_Z6kernelI23blocked_to_warp_stripediLj256ELj2ELj100EEvPKT0_PKjPS1_
	.p2align	8
	.type	_Z6kernelI23blocked_to_warp_stripediLj256ELj2ELj100EEvPKT0_PKjPS1_,@function
_Z6kernelI23blocked_to_warp_stripediLj256ELj2ELj100EEvPKT0_PKjPS1_: ; @_Z6kernelI23blocked_to_warp_stripediLj256ELj2ELj100EEvPKT0_PKjPS1_
; %bb.0:
	s_load_dwordx2 s[2:3], s[4:5], 0x0
	s_lshl_b32 s0, s6, 9
	s_mov_b32 s1, 0
	s_lshl_b64 s[0:1], s[0:1], 2
	v_lshlrev_b32_e32 v1, 3, v0
	s_waitcnt lgkmcnt(0)
	s_add_u32 s2, s2, s0
	s_addc_u32 s3, s3, s1
	global_load_dwordx2 v[2:3], v1, s[2:3]
	v_mbcnt_lo_u32_b32 v1, -1, 0
	v_lshlrev_b32_e32 v5, 1, v0
	v_mbcnt_hi_u32_b32 v1, -1, v1
	v_and_b32_e32 v0, 0xc0, v0
	v_add_u32_e32 v0, v1, v0
	v_lshrrev_b32_e32 v4, 2, v0
	v_and_b32_e32 v4, 0x7c, v4
	v_lshl_add_u32 v4, v0, 3, v4
	v_and_b32_e32 v0, 0x180, v5
	v_or_b32_e32 v6, v1, v0
	v_add_u32_e32 v7, 64, v6
	v_lshrrev_b32_e32 v5, 5, v6
	v_lshrrev_b32_e32 v7, 5, v7
	v_add_lshl_u32 v5, v5, v6, 2
	v_add_lshl_u32 v6, v7, v6, 2
	s_movk_i32 s2, 0x64
.LBB61_1:                               ; =>This Inner Loop Header: Depth=1
	s_waitcnt vmcnt(0)
	ds_write2_b32 v4, v2, v3 offset1:1
	; wave barrier
	ds_read_b32 v2, v5
	ds_read_b32 v3, v6 offset:256
	s_add_i32 s2, s2, -1
	s_cmp_lg_u32 s2, 0
	s_waitcnt lgkmcnt(0)
	s_barrier
	s_cbranch_scc1 .LBB61_1
; %bb.2:
	s_load_dwordx2 s[2:3], s[4:5], 0x10
	v_lshlrev_b32_e32 v1, 2, v1
	v_lshlrev_b32_e32 v0, 2, v0
	s_waitcnt lgkmcnt(0)
	s_add_u32 s0, s2, s0
	s_addc_u32 s1, s3, s1
	v_mov_b32_e32 v4, s1
	v_add_co_u32_e32 v1, vcc, s0, v1
	v_addc_co_u32_e32 v4, vcc, 0, v4, vcc
	v_add_co_u32_e32 v0, vcc, v1, v0
	v_addc_co_u32_e32 v1, vcc, 0, v4, vcc
	global_store_dword v[0:1], v2, off
	global_store_dword v[0:1], v3, off offset:256
	s_endpgm
	.section	.rodata,"a",@progbits
	.p2align	6, 0x0
	.amdhsa_kernel _Z6kernelI23blocked_to_warp_stripediLj256ELj2ELj100EEvPKT0_PKjPS1_
		.amdhsa_group_segment_fixed_size 2112
		.amdhsa_private_segment_fixed_size 0
		.amdhsa_kernarg_size 24
		.amdhsa_user_sgpr_count 6
		.amdhsa_user_sgpr_private_segment_buffer 1
		.amdhsa_user_sgpr_dispatch_ptr 0
		.amdhsa_user_sgpr_queue_ptr 0
		.amdhsa_user_sgpr_kernarg_segment_ptr 1
		.amdhsa_user_sgpr_dispatch_id 0
		.amdhsa_user_sgpr_flat_scratch_init 0
		.amdhsa_user_sgpr_kernarg_preload_length 0
		.amdhsa_user_sgpr_kernarg_preload_offset 0
		.amdhsa_user_sgpr_private_segment_size 0
		.amdhsa_uses_dynamic_stack 0
		.amdhsa_system_sgpr_private_segment_wavefront_offset 0
		.amdhsa_system_sgpr_workgroup_id_x 1
		.amdhsa_system_sgpr_workgroup_id_y 0
		.amdhsa_system_sgpr_workgroup_id_z 0
		.amdhsa_system_sgpr_workgroup_info 0
		.amdhsa_system_vgpr_workitem_id 0
		.amdhsa_next_free_vgpr 8
		.amdhsa_next_free_sgpr 7
		.amdhsa_accum_offset 8
		.amdhsa_reserve_vcc 1
		.amdhsa_reserve_flat_scratch 0
		.amdhsa_float_round_mode_32 0
		.amdhsa_float_round_mode_16_64 0
		.amdhsa_float_denorm_mode_32 3
		.amdhsa_float_denorm_mode_16_64 3
		.amdhsa_dx10_clamp 1
		.amdhsa_ieee_mode 1
		.amdhsa_fp16_overflow 0
		.amdhsa_tg_split 0
		.amdhsa_exception_fp_ieee_invalid_op 0
		.amdhsa_exception_fp_denorm_src 0
		.amdhsa_exception_fp_ieee_div_zero 0
		.amdhsa_exception_fp_ieee_overflow 0
		.amdhsa_exception_fp_ieee_underflow 0
		.amdhsa_exception_fp_ieee_inexact 0
		.amdhsa_exception_int_div_zero 0
	.end_amdhsa_kernel
	.section	.text._Z6kernelI23blocked_to_warp_stripediLj256ELj2ELj100EEvPKT0_PKjPS1_,"axG",@progbits,_Z6kernelI23blocked_to_warp_stripediLj256ELj2ELj100EEvPKT0_PKjPS1_,comdat
.Lfunc_end61:
	.size	_Z6kernelI23blocked_to_warp_stripediLj256ELj2ELj100EEvPKT0_PKjPS1_, .Lfunc_end61-_Z6kernelI23blocked_to_warp_stripediLj256ELj2ELj100EEvPKT0_PKjPS1_
                                        ; -- End function
	.section	.AMDGPU.csdata,"",@progbits
; Kernel info:
; codeLenInByte = 256
; NumSgprs: 11
; NumVgprs: 8
; NumAgprs: 0
; TotalNumVgprs: 8
; ScratchSize: 0
; MemoryBound: 0
; FloatMode: 240
; IeeeMode: 1
; LDSByteSize: 2112 bytes/workgroup (compile time only)
; SGPRBlocks: 1
; VGPRBlocks: 0
; NumSGPRsForWavesPerEU: 11
; NumVGPRsForWavesPerEU: 8
; AccumOffset: 8
; Occupancy: 8
; WaveLimiterHint : 1
; COMPUTE_PGM_RSRC2:SCRATCH_EN: 0
; COMPUTE_PGM_RSRC2:USER_SGPR: 6
; COMPUTE_PGM_RSRC2:TRAP_HANDLER: 0
; COMPUTE_PGM_RSRC2:TGID_X_EN: 1
; COMPUTE_PGM_RSRC2:TGID_Y_EN: 0
; COMPUTE_PGM_RSRC2:TGID_Z_EN: 0
; COMPUTE_PGM_RSRC2:TIDIG_COMP_CNT: 0
; COMPUTE_PGM_RSRC3_GFX90A:ACCUM_OFFSET: 1
; COMPUTE_PGM_RSRC3_GFX90A:TG_SPLIT: 0
	.section	.text._Z6kernelI23blocked_to_warp_stripediLj256ELj3ELj100EEvPKT0_PKjPS1_,"axG",@progbits,_Z6kernelI23blocked_to_warp_stripediLj256ELj3ELj100EEvPKT0_PKjPS1_,comdat
	.protected	_Z6kernelI23blocked_to_warp_stripediLj256ELj3ELj100EEvPKT0_PKjPS1_ ; -- Begin function _Z6kernelI23blocked_to_warp_stripediLj256ELj3ELj100EEvPKT0_PKjPS1_
	.globl	_Z6kernelI23blocked_to_warp_stripediLj256ELj3ELj100EEvPKT0_PKjPS1_
	.p2align	8
	.type	_Z6kernelI23blocked_to_warp_stripediLj256ELj3ELj100EEvPKT0_PKjPS1_,@function
_Z6kernelI23blocked_to_warp_stripediLj256ELj3ELj100EEvPKT0_PKjPS1_: ; @_Z6kernelI23blocked_to_warp_stripediLj256ELj3ELj100EEvPKT0_PKjPS1_
; %bb.0:
	s_load_dwordx2 s[2:3], s[4:5], 0x0
	s_mul_i32 s0, s6, 0x300
	s_mov_b32 s1, 0
	s_lshl_b64 s[0:1], s[0:1], 2
	v_mul_u32_u24_e32 v1, 3, v0
	s_waitcnt lgkmcnt(0)
	s_add_u32 s2, s2, s0
	s_addc_u32 s3, s3, s1
	v_lshlrev_b32_e32 v1, 2, v1
	global_load_dwordx3 v[2:4], v1, s[2:3]
	v_lshrrev_b32_e32 v5, 6, v0
	v_mbcnt_lo_u32_b32 v1, -1, 0
	v_mul_u32_u24_e32 v6, 0xc0, v5
	v_mbcnt_hi_u32_b32 v1, -1, v1
	v_lshlrev_b32_e32 v5, 2, v6
	v_mad_u32_u24 v5, v1, 12, v5
	v_add_lshl_u32 v6, v1, v6, 2
	s_movk_i32 s2, 0x64
.LBB62_1:                               ; =>This Inner Loop Header: Depth=1
	s_waitcnt vmcnt(0)
	ds_write2_b32 v5, v2, v3 offset1:1
	ds_write_b32 v5, v4 offset:8
	; wave barrier
	ds_read2st64_b32 v[2:3], v6 offset1:1
	ds_read_b32 v4, v6 offset:512
	s_add_i32 s2, s2, -1
	s_cmp_lg_u32 s2, 0
	s_waitcnt lgkmcnt(0)
	s_barrier
	s_cbranch_scc1 .LBB62_1
; %bb.2:
	s_load_dwordx2 s[2:3], s[4:5], 0x10
	v_and_b32_e32 v0, 0xc0, v0
	v_lshlrev_b32_e32 v1, 2, v1
	v_mul_u32_u24_e32 v0, 3, v0
	v_lshlrev_b32_e32 v0, 2, v0
	s_waitcnt lgkmcnt(0)
	s_add_u32 s0, s2, s0
	s_addc_u32 s1, s3, s1
	v_mov_b32_e32 v5, s1
	v_add_co_u32_e32 v1, vcc, s0, v1
	v_addc_co_u32_e32 v5, vcc, 0, v5, vcc
	v_add_co_u32_e32 v0, vcc, v1, v0
	v_addc_co_u32_e32 v1, vcc, 0, v5, vcc
	global_store_dword v[0:1], v2, off
	global_store_dword v[0:1], v3, off offset:256
	global_store_dword v[0:1], v4, off offset:512
	s_endpgm
	.section	.rodata,"a",@progbits
	.p2align	6, 0x0
	.amdhsa_kernel _Z6kernelI23blocked_to_warp_stripediLj256ELj3ELj100EEvPKT0_PKjPS1_
		.amdhsa_group_segment_fixed_size 3072
		.amdhsa_private_segment_fixed_size 0
		.amdhsa_kernarg_size 24
		.amdhsa_user_sgpr_count 6
		.amdhsa_user_sgpr_private_segment_buffer 1
		.amdhsa_user_sgpr_dispatch_ptr 0
		.amdhsa_user_sgpr_queue_ptr 0
		.amdhsa_user_sgpr_kernarg_segment_ptr 1
		.amdhsa_user_sgpr_dispatch_id 0
		.amdhsa_user_sgpr_flat_scratch_init 0
		.amdhsa_user_sgpr_kernarg_preload_length 0
		.amdhsa_user_sgpr_kernarg_preload_offset 0
		.amdhsa_user_sgpr_private_segment_size 0
		.amdhsa_uses_dynamic_stack 0
		.amdhsa_system_sgpr_private_segment_wavefront_offset 0
		.amdhsa_system_sgpr_workgroup_id_x 1
		.amdhsa_system_sgpr_workgroup_id_y 0
		.amdhsa_system_sgpr_workgroup_id_z 0
		.amdhsa_system_sgpr_workgroup_info 0
		.amdhsa_system_vgpr_workitem_id 0
		.amdhsa_next_free_vgpr 7
		.amdhsa_next_free_sgpr 7
		.amdhsa_accum_offset 8
		.amdhsa_reserve_vcc 1
		.amdhsa_reserve_flat_scratch 0
		.amdhsa_float_round_mode_32 0
		.amdhsa_float_round_mode_16_64 0
		.amdhsa_float_denorm_mode_32 3
		.amdhsa_float_denorm_mode_16_64 3
		.amdhsa_dx10_clamp 1
		.amdhsa_ieee_mode 1
		.amdhsa_fp16_overflow 0
		.amdhsa_tg_split 0
		.amdhsa_exception_fp_ieee_invalid_op 0
		.amdhsa_exception_fp_denorm_src 0
		.amdhsa_exception_fp_ieee_div_zero 0
		.amdhsa_exception_fp_ieee_overflow 0
		.amdhsa_exception_fp_ieee_underflow 0
		.amdhsa_exception_fp_ieee_inexact 0
		.amdhsa_exception_int_div_zero 0
	.end_amdhsa_kernel
	.section	.text._Z6kernelI23blocked_to_warp_stripediLj256ELj3ELj100EEvPKT0_PKjPS1_,"axG",@progbits,_Z6kernelI23blocked_to_warp_stripediLj256ELj3ELj100EEvPKT0_PKjPS1_,comdat
.Lfunc_end62:
	.size	_Z6kernelI23blocked_to_warp_stripediLj256ELj3ELj100EEvPKT0_PKjPS1_, .Lfunc_end62-_Z6kernelI23blocked_to_warp_stripediLj256ELj3ELj100EEvPKT0_PKjPS1_
                                        ; -- End function
	.section	.AMDGPU.csdata,"",@progbits
; Kernel info:
; codeLenInByte = 248
; NumSgprs: 11
; NumVgprs: 7
; NumAgprs: 0
; TotalNumVgprs: 7
; ScratchSize: 0
; MemoryBound: 0
; FloatMode: 240
; IeeeMode: 1
; LDSByteSize: 3072 bytes/workgroup (compile time only)
; SGPRBlocks: 1
; VGPRBlocks: 0
; NumSGPRsForWavesPerEU: 11
; NumVGPRsForWavesPerEU: 7
; AccumOffset: 8
; Occupancy: 8
; WaveLimiterHint : 1
; COMPUTE_PGM_RSRC2:SCRATCH_EN: 0
; COMPUTE_PGM_RSRC2:USER_SGPR: 6
; COMPUTE_PGM_RSRC2:TRAP_HANDLER: 0
; COMPUTE_PGM_RSRC2:TGID_X_EN: 1
; COMPUTE_PGM_RSRC2:TGID_Y_EN: 0
; COMPUTE_PGM_RSRC2:TGID_Z_EN: 0
; COMPUTE_PGM_RSRC2:TIDIG_COMP_CNT: 0
; COMPUTE_PGM_RSRC3_GFX90A:ACCUM_OFFSET: 1
; COMPUTE_PGM_RSRC3_GFX90A:TG_SPLIT: 0
	.section	.text._Z6kernelI23blocked_to_warp_stripediLj256ELj4ELj100EEvPKT0_PKjPS1_,"axG",@progbits,_Z6kernelI23blocked_to_warp_stripediLj256ELj4ELj100EEvPKT0_PKjPS1_,comdat
	.protected	_Z6kernelI23blocked_to_warp_stripediLj256ELj4ELj100EEvPKT0_PKjPS1_ ; -- Begin function _Z6kernelI23blocked_to_warp_stripediLj256ELj4ELj100EEvPKT0_PKjPS1_
	.globl	_Z6kernelI23blocked_to_warp_stripediLj256ELj4ELj100EEvPKT0_PKjPS1_
	.p2align	8
	.type	_Z6kernelI23blocked_to_warp_stripediLj256ELj4ELj100EEvPKT0_PKjPS1_,@function
_Z6kernelI23blocked_to_warp_stripediLj256ELj4ELj100EEvPKT0_PKjPS1_: ; @_Z6kernelI23blocked_to_warp_stripediLj256ELj4ELj100EEvPKT0_PKjPS1_
; %bb.0:
	s_load_dwordx2 s[2:3], s[4:5], 0x0
	s_lshl_b32 s0, s6, 10
	s_mov_b32 s1, 0
	s_lshl_b64 s[0:1], s[0:1], 2
	v_lshlrev_b32_e32 v1, 4, v0
	s_waitcnt lgkmcnt(0)
	s_add_u32 s2, s2, s0
	s_addc_u32 s3, s3, s1
	global_load_dwordx4 v[2:5], v1, s[2:3]
	v_mbcnt_lo_u32_b32 v1, -1, 0
	v_lshlrev_b32_e32 v7, 2, v0
	v_mbcnt_hi_u32_b32 v1, -1, v1
	v_and_b32_e32 v0, 0xc0, v0
	v_add_u32_e32 v6, v1, v0
	v_add_u16_e32 v0, v1, v0
	v_lshrrev_b16_e32 v0, 1, v0
	v_and_b32_e32 v0, 0xfc, v0
	v_lshl_add_u32 v6, v6, 4, v0
	v_and_b32_e32 v0, 0x300, v7
	v_or_b32_e32 v10, v1, v0
	v_add_u32_e32 v8, 64, v10
	v_or_b32_e32 v9, 0x80, v10
	v_add_u32_e32 v11, 0xc0, v10
	v_lshrrev_b32_e32 v7, 5, v10
	v_lshrrev_b32_e32 v8, 5, v8
	v_lshrrev_b32_e32 v9, 5, v9
	v_lshrrev_b32_e32 v11, 5, v11
	v_add_lshl_u32 v7, v7, v10, 2
	v_add_lshl_u32 v8, v8, v10, 2
	;; [unrolled: 1-line block ×4, first 2 shown]
	s_movk_i32 s2, 0x64
.LBB63_1:                               ; =>This Inner Loop Header: Depth=1
	s_waitcnt vmcnt(0)
	ds_write2_b32 v6, v2, v3 offset1:1
	ds_write2_b32 v6, v4, v5 offset0:2 offset1:3
	; wave barrier
	ds_read_b32 v2, v7
	ds_read_b32 v3, v8 offset:256
	ds_read_b32 v4, v9 offset:512
	;; [unrolled: 1-line block ×3, first 2 shown]
	s_add_i32 s2, s2, -1
	s_cmp_lg_u32 s2, 0
	s_waitcnt lgkmcnt(0)
	s_barrier
	s_cbranch_scc1 .LBB63_1
; %bb.2:
	s_load_dwordx2 s[2:3], s[4:5], 0x10
	v_lshlrev_b32_e32 v1, 2, v1
	v_lshlrev_b32_e32 v0, 2, v0
	s_waitcnt lgkmcnt(0)
	s_add_u32 s0, s2, s0
	s_addc_u32 s1, s3, s1
	v_mov_b32_e32 v6, s1
	v_add_co_u32_e32 v1, vcc, s0, v1
	v_addc_co_u32_e32 v6, vcc, 0, v6, vcc
	v_add_co_u32_e32 v0, vcc, v1, v0
	v_addc_co_u32_e32 v1, vcc, 0, v6, vcc
	global_store_dword v[0:1], v2, off
	global_store_dword v[0:1], v3, off offset:256
	global_store_dword v[0:1], v4, off offset:512
	;; [unrolled: 1-line block ×3, first 2 shown]
	s_endpgm
	.section	.rodata,"a",@progbits
	.p2align	6, 0x0
	.amdhsa_kernel _Z6kernelI23blocked_to_warp_stripediLj256ELj4ELj100EEvPKT0_PKjPS1_
		.amdhsa_group_segment_fixed_size 4224
		.amdhsa_private_segment_fixed_size 0
		.amdhsa_kernarg_size 24
		.amdhsa_user_sgpr_count 6
		.amdhsa_user_sgpr_private_segment_buffer 1
		.amdhsa_user_sgpr_dispatch_ptr 0
		.amdhsa_user_sgpr_queue_ptr 0
		.amdhsa_user_sgpr_kernarg_segment_ptr 1
		.amdhsa_user_sgpr_dispatch_id 0
		.amdhsa_user_sgpr_flat_scratch_init 0
		.amdhsa_user_sgpr_kernarg_preload_length 0
		.amdhsa_user_sgpr_kernarg_preload_offset 0
		.amdhsa_user_sgpr_private_segment_size 0
		.amdhsa_uses_dynamic_stack 0
		.amdhsa_system_sgpr_private_segment_wavefront_offset 0
		.amdhsa_system_sgpr_workgroup_id_x 1
		.amdhsa_system_sgpr_workgroup_id_y 0
		.amdhsa_system_sgpr_workgroup_id_z 0
		.amdhsa_system_sgpr_workgroup_info 0
		.amdhsa_system_vgpr_workitem_id 0
		.amdhsa_next_free_vgpr 12
		.amdhsa_next_free_sgpr 7
		.amdhsa_accum_offset 12
		.amdhsa_reserve_vcc 1
		.amdhsa_reserve_flat_scratch 0
		.amdhsa_float_round_mode_32 0
		.amdhsa_float_round_mode_16_64 0
		.amdhsa_float_denorm_mode_32 3
		.amdhsa_float_denorm_mode_16_64 3
		.amdhsa_dx10_clamp 1
		.amdhsa_ieee_mode 1
		.amdhsa_fp16_overflow 0
		.amdhsa_tg_split 0
		.amdhsa_exception_fp_ieee_invalid_op 0
		.amdhsa_exception_fp_denorm_src 0
		.amdhsa_exception_fp_ieee_div_zero 0
		.amdhsa_exception_fp_ieee_overflow 0
		.amdhsa_exception_fp_ieee_underflow 0
		.amdhsa_exception_fp_ieee_inexact 0
		.amdhsa_exception_int_div_zero 0
	.end_amdhsa_kernel
	.section	.text._Z6kernelI23blocked_to_warp_stripediLj256ELj4ELj100EEvPKT0_PKjPS1_,"axG",@progbits,_Z6kernelI23blocked_to_warp_stripediLj256ELj4ELj100EEvPKT0_PKjPS1_,comdat
.Lfunc_end63:
	.size	_Z6kernelI23blocked_to_warp_stripediLj256ELj4ELj100EEvPKT0_PKjPS1_, .Lfunc_end63-_Z6kernelI23blocked_to_warp_stripediLj256ELj4ELj100EEvPKT0_PKjPS1_
                                        ; -- End function
	.section	.AMDGPU.csdata,"",@progbits
; Kernel info:
; codeLenInByte = 340
; NumSgprs: 11
; NumVgprs: 12
; NumAgprs: 0
; TotalNumVgprs: 12
; ScratchSize: 0
; MemoryBound: 0
; FloatMode: 240
; IeeeMode: 1
; LDSByteSize: 4224 bytes/workgroup (compile time only)
; SGPRBlocks: 1
; VGPRBlocks: 1
; NumSGPRsForWavesPerEU: 11
; NumVGPRsForWavesPerEU: 12
; AccumOffset: 12
; Occupancy: 8
; WaveLimiterHint : 1
; COMPUTE_PGM_RSRC2:SCRATCH_EN: 0
; COMPUTE_PGM_RSRC2:USER_SGPR: 6
; COMPUTE_PGM_RSRC2:TRAP_HANDLER: 0
; COMPUTE_PGM_RSRC2:TGID_X_EN: 1
; COMPUTE_PGM_RSRC2:TGID_Y_EN: 0
; COMPUTE_PGM_RSRC2:TGID_Z_EN: 0
; COMPUTE_PGM_RSRC2:TIDIG_COMP_CNT: 0
; COMPUTE_PGM_RSRC3_GFX90A:ACCUM_OFFSET: 2
; COMPUTE_PGM_RSRC3_GFX90A:TG_SPLIT: 0
	.section	.text._Z6kernelI23blocked_to_warp_stripediLj256ELj7ELj100EEvPKT0_PKjPS1_,"axG",@progbits,_Z6kernelI23blocked_to_warp_stripediLj256ELj7ELj100EEvPKT0_PKjPS1_,comdat
	.protected	_Z6kernelI23blocked_to_warp_stripediLj256ELj7ELj100EEvPKT0_PKjPS1_ ; -- Begin function _Z6kernelI23blocked_to_warp_stripediLj256ELj7ELj100EEvPKT0_PKjPS1_
	.globl	_Z6kernelI23blocked_to_warp_stripediLj256ELj7ELj100EEvPKT0_PKjPS1_
	.p2align	8
	.type	_Z6kernelI23blocked_to_warp_stripediLj256ELj7ELj100EEvPKT0_PKjPS1_,@function
_Z6kernelI23blocked_to_warp_stripediLj256ELj7ELj100EEvPKT0_PKjPS1_: ; @_Z6kernelI23blocked_to_warp_stripediLj256ELj7ELj100EEvPKT0_PKjPS1_
; %bb.0:
	s_load_dwordx2 s[2:3], s[4:5], 0x0
	s_mul_i32 s0, s6, 0x700
	s_mov_b32 s1, 0
	s_lshl_b64 s[0:1], s[0:1], 2
	v_mul_u32_u24_e32 v1, 7, v0
	s_waitcnt lgkmcnt(0)
	s_add_u32 s2, s2, s0
	s_addc_u32 s3, s3, s1
	v_lshlrev_b32_e32 v1, 2, v1
	global_load_dwordx3 v[6:8], v1, s[2:3] offset:16
	global_load_dwordx4 v[2:5], v1, s[2:3]
	v_lshrrev_b32_e32 v9, 6, v0
	v_mbcnt_lo_u32_b32 v1, -1, 0
	v_mul_u32_u24_e32 v10, 0x1c0, v9
	v_mbcnt_hi_u32_b32 v1, -1, v1
	v_lshlrev_b32_e32 v9, 2, v10
	v_mad_u32_u24 v9, v1, 28, v9
	v_add_lshl_u32 v10, v1, v10, 2
	s_movk_i32 s2, 0x64
.LBB64_1:                               ; =>This Inner Loop Header: Depth=1
	s_waitcnt vmcnt(0)
	ds_write2_b32 v9, v2, v3 offset1:1
	ds_write2_b32 v9, v4, v5 offset0:2 offset1:3
	ds_write2_b32 v9, v6, v7 offset0:4 offset1:5
	ds_write_b32 v9, v8 offset:24
	; wave barrier
	ds_read2st64_b32 v[2:3], v10 offset1:1
	ds_read2st64_b32 v[4:5], v10 offset0:2 offset1:3
	ds_read2st64_b32 v[6:7], v10 offset0:4 offset1:5
	ds_read_b32 v8, v10 offset:1536
	s_add_i32 s2, s2, -1
	s_cmp_lg_u32 s2, 0
	s_waitcnt lgkmcnt(0)
	s_barrier
	s_cbranch_scc1 .LBB64_1
; %bb.2:
	s_load_dwordx2 s[2:3], s[4:5], 0x10
	v_and_b32_e32 v0, 0xc0, v0
	v_lshlrev_b32_e32 v1, 2, v1
	v_mul_u32_u24_e32 v0, 7, v0
	v_lshlrev_b32_e32 v0, 2, v0
	s_waitcnt lgkmcnt(0)
	s_add_u32 s0, s2, s0
	s_addc_u32 s1, s3, s1
	v_mov_b32_e32 v9, s1
	v_add_co_u32_e32 v1, vcc, s0, v1
	v_addc_co_u32_e32 v9, vcc, 0, v9, vcc
	v_add_co_u32_e32 v0, vcc, v1, v0
	v_addc_co_u32_e32 v1, vcc, 0, v9, vcc
	global_store_dword v[0:1], v2, off
	global_store_dword v[0:1], v3, off offset:256
	global_store_dword v[0:1], v4, off offset:512
	global_store_dword v[0:1], v5, off offset:768
	global_store_dword v[0:1], v6, off offset:1024
	global_store_dword v[0:1], v7, off offset:1280
	global_store_dword v[0:1], v8, off offset:1536
	s_endpgm
	.section	.rodata,"a",@progbits
	.p2align	6, 0x0
	.amdhsa_kernel _Z6kernelI23blocked_to_warp_stripediLj256ELj7ELj100EEvPKT0_PKjPS1_
		.amdhsa_group_segment_fixed_size 7168
		.amdhsa_private_segment_fixed_size 0
		.amdhsa_kernarg_size 24
		.amdhsa_user_sgpr_count 6
		.amdhsa_user_sgpr_private_segment_buffer 1
		.amdhsa_user_sgpr_dispatch_ptr 0
		.amdhsa_user_sgpr_queue_ptr 0
		.amdhsa_user_sgpr_kernarg_segment_ptr 1
		.amdhsa_user_sgpr_dispatch_id 0
		.amdhsa_user_sgpr_flat_scratch_init 0
		.amdhsa_user_sgpr_kernarg_preload_length 0
		.amdhsa_user_sgpr_kernarg_preload_offset 0
		.amdhsa_user_sgpr_private_segment_size 0
		.amdhsa_uses_dynamic_stack 0
		.amdhsa_system_sgpr_private_segment_wavefront_offset 0
		.amdhsa_system_sgpr_workgroup_id_x 1
		.amdhsa_system_sgpr_workgroup_id_y 0
		.amdhsa_system_sgpr_workgroup_id_z 0
		.amdhsa_system_sgpr_workgroup_info 0
		.amdhsa_system_vgpr_workitem_id 0
		.amdhsa_next_free_vgpr 11
		.amdhsa_next_free_sgpr 7
		.amdhsa_accum_offset 12
		.amdhsa_reserve_vcc 1
		.amdhsa_reserve_flat_scratch 0
		.amdhsa_float_round_mode_32 0
		.amdhsa_float_round_mode_16_64 0
		.amdhsa_float_denorm_mode_32 3
		.amdhsa_float_denorm_mode_16_64 3
		.amdhsa_dx10_clamp 1
		.amdhsa_ieee_mode 1
		.amdhsa_fp16_overflow 0
		.amdhsa_tg_split 0
		.amdhsa_exception_fp_ieee_invalid_op 0
		.amdhsa_exception_fp_denorm_src 0
		.amdhsa_exception_fp_ieee_div_zero 0
		.amdhsa_exception_fp_ieee_overflow 0
		.amdhsa_exception_fp_ieee_underflow 0
		.amdhsa_exception_fp_ieee_inexact 0
		.amdhsa_exception_int_div_zero 0
	.end_amdhsa_kernel
	.section	.text._Z6kernelI23blocked_to_warp_stripediLj256ELj7ELj100EEvPKT0_PKjPS1_,"axG",@progbits,_Z6kernelI23blocked_to_warp_stripediLj256ELj7ELj100EEvPKT0_PKjPS1_,comdat
.Lfunc_end64:
	.size	_Z6kernelI23blocked_to_warp_stripediLj256ELj7ELj100EEvPKT0_PKjPS1_, .Lfunc_end64-_Z6kernelI23blocked_to_warp_stripediLj256ELj7ELj100EEvPKT0_PKjPS1_
                                        ; -- End function
	.section	.AMDGPU.csdata,"",@progbits
; Kernel info:
; codeLenInByte = 320
; NumSgprs: 11
; NumVgprs: 11
; NumAgprs: 0
; TotalNumVgprs: 11
; ScratchSize: 0
; MemoryBound: 0
; FloatMode: 240
; IeeeMode: 1
; LDSByteSize: 7168 bytes/workgroup (compile time only)
; SGPRBlocks: 1
; VGPRBlocks: 1
; NumSGPRsForWavesPerEU: 11
; NumVGPRsForWavesPerEU: 11
; AccumOffset: 12
; Occupancy: 8
; WaveLimiterHint : 1
; COMPUTE_PGM_RSRC2:SCRATCH_EN: 0
; COMPUTE_PGM_RSRC2:USER_SGPR: 6
; COMPUTE_PGM_RSRC2:TRAP_HANDLER: 0
; COMPUTE_PGM_RSRC2:TGID_X_EN: 1
; COMPUTE_PGM_RSRC2:TGID_Y_EN: 0
; COMPUTE_PGM_RSRC2:TGID_Z_EN: 0
; COMPUTE_PGM_RSRC2:TIDIG_COMP_CNT: 0
; COMPUTE_PGM_RSRC3_GFX90A:ACCUM_OFFSET: 2
; COMPUTE_PGM_RSRC3_GFX90A:TG_SPLIT: 0
	.section	.text._Z6kernelI23blocked_to_warp_stripediLj256ELj8ELj100EEvPKT0_PKjPS1_,"axG",@progbits,_Z6kernelI23blocked_to_warp_stripediLj256ELj8ELj100EEvPKT0_PKjPS1_,comdat
	.protected	_Z6kernelI23blocked_to_warp_stripediLj256ELj8ELj100EEvPKT0_PKjPS1_ ; -- Begin function _Z6kernelI23blocked_to_warp_stripediLj256ELj8ELj100EEvPKT0_PKjPS1_
	.globl	_Z6kernelI23blocked_to_warp_stripediLj256ELj8ELj100EEvPKT0_PKjPS1_
	.p2align	8
	.type	_Z6kernelI23blocked_to_warp_stripediLj256ELj8ELj100EEvPKT0_PKjPS1_,@function
_Z6kernelI23blocked_to_warp_stripediLj256ELj8ELj100EEvPKT0_PKjPS1_: ; @_Z6kernelI23blocked_to_warp_stripediLj256ELj8ELj100EEvPKT0_PKjPS1_
; %bb.0:
	s_load_dwordx2 s[2:3], s[4:5], 0x0
	s_lshl_b32 s0, s6, 11
	s_mov_b32 s1, 0
	s_lshl_b64 s[0:1], s[0:1], 2
	v_lshlrev_b32_e32 v1, 5, v0
	s_waitcnt lgkmcnt(0)
	s_add_u32 s2, s2, s0
	s_addc_u32 s3, s3, s1
	global_load_dwordx4 v[2:5], v1, s[2:3]
	global_load_dwordx4 v[6:9], v1, s[2:3] offset:16
	v_mbcnt_lo_u32_b32 v1, -1, 0
	v_lshlrev_b32_e32 v11, 3, v0
	v_mbcnt_hi_u32_b32 v1, -1, v1
	v_and_b32_e32 v0, 0xc0, v0
	v_add_u32_e32 v0, v1, v0
	v_and_b32_e32 v10, 0x1fc, v0
	v_lshl_add_u32 v10, v0, 5, v10
	v_and_b32_e32 v0, 0x600, v11
	v_or_b32_e32 v18, v1, v0
	v_add_u32_e32 v12, 64, v18
	v_or_b32_e32 v13, 0x80, v18
	v_add_u32_e32 v14, 0xc0, v18
	;; [unrolled: 2-line block ×4, first 2 shown]
	v_lshrrev_b32_e32 v11, 5, v18
	v_lshrrev_b32_e32 v12, 5, v12
	v_lshrrev_b32_e32 v13, 5, v13
	v_lshrrev_b32_e32 v14, 5, v14
	v_lshrrev_b32_e32 v15, 5, v15
	v_lshrrev_b32_e32 v16, 5, v16
	v_lshrrev_b32_e32 v17, 5, v17
	v_lshrrev_b32_e32 v19, 5, v19
	v_add_lshl_u32 v11, v11, v18, 2
	v_add_lshl_u32 v12, v12, v18, 2
	;; [unrolled: 1-line block ×8, first 2 shown]
	s_movk_i32 s2, 0x64
.LBB65_1:                               ; =>This Inner Loop Header: Depth=1
	s_waitcnt vmcnt(1)
	ds_write2_b32 v10, v2, v3 offset1:1
	ds_write2_b32 v10, v4, v5 offset0:2 offset1:3
	s_waitcnt vmcnt(0)
	ds_write2_b32 v10, v6, v7 offset0:4 offset1:5
	ds_write2_b32 v10, v8, v9 offset0:6 offset1:7
	; wave barrier
	ds_read_b32 v2, v11
	ds_read_b32 v3, v12 offset:256
	ds_read_b32 v4, v13 offset:512
	;; [unrolled: 1-line block ×7, first 2 shown]
	s_add_i32 s2, s2, -1
	s_cmp_lg_u32 s2, 0
	s_waitcnt lgkmcnt(0)
	s_barrier
	s_cbranch_scc1 .LBB65_1
; %bb.2:
	s_load_dwordx2 s[2:3], s[4:5], 0x10
	v_lshlrev_b32_e32 v1, 2, v1
	v_lshlrev_b32_e32 v0, 2, v0
	s_waitcnt lgkmcnt(0)
	s_add_u32 s0, s2, s0
	s_addc_u32 s1, s3, s1
	v_mov_b32_e32 v10, s1
	v_add_co_u32_e32 v1, vcc, s0, v1
	v_addc_co_u32_e32 v10, vcc, 0, v10, vcc
	v_add_co_u32_e32 v0, vcc, v1, v0
	v_addc_co_u32_e32 v1, vcc, 0, v10, vcc
	global_store_dword v[0:1], v2, off
	global_store_dword v[0:1], v3, off offset:256
	global_store_dword v[0:1], v4, off offset:512
	;; [unrolled: 1-line block ×7, first 2 shown]
	s_endpgm
	.section	.rodata,"a",@progbits
	.p2align	6, 0x0
	.amdhsa_kernel _Z6kernelI23blocked_to_warp_stripediLj256ELj8ELj100EEvPKT0_PKjPS1_
		.amdhsa_group_segment_fixed_size 8448
		.amdhsa_private_segment_fixed_size 0
		.amdhsa_kernarg_size 24
		.amdhsa_user_sgpr_count 6
		.amdhsa_user_sgpr_private_segment_buffer 1
		.amdhsa_user_sgpr_dispatch_ptr 0
		.amdhsa_user_sgpr_queue_ptr 0
		.amdhsa_user_sgpr_kernarg_segment_ptr 1
		.amdhsa_user_sgpr_dispatch_id 0
		.amdhsa_user_sgpr_flat_scratch_init 0
		.amdhsa_user_sgpr_kernarg_preload_length 0
		.amdhsa_user_sgpr_kernarg_preload_offset 0
		.amdhsa_user_sgpr_private_segment_size 0
		.amdhsa_uses_dynamic_stack 0
		.amdhsa_system_sgpr_private_segment_wavefront_offset 0
		.amdhsa_system_sgpr_workgroup_id_x 1
		.amdhsa_system_sgpr_workgroup_id_y 0
		.amdhsa_system_sgpr_workgroup_id_z 0
		.amdhsa_system_sgpr_workgroup_info 0
		.amdhsa_system_vgpr_workitem_id 0
		.amdhsa_next_free_vgpr 20
		.amdhsa_next_free_sgpr 7
		.amdhsa_accum_offset 20
		.amdhsa_reserve_vcc 1
		.amdhsa_reserve_flat_scratch 0
		.amdhsa_float_round_mode_32 0
		.amdhsa_float_round_mode_16_64 0
		.amdhsa_float_denorm_mode_32 3
		.amdhsa_float_denorm_mode_16_64 3
		.amdhsa_dx10_clamp 1
		.amdhsa_ieee_mode 1
		.amdhsa_fp16_overflow 0
		.amdhsa_tg_split 0
		.amdhsa_exception_fp_ieee_invalid_op 0
		.amdhsa_exception_fp_denorm_src 0
		.amdhsa_exception_fp_ieee_div_zero 0
		.amdhsa_exception_fp_ieee_overflow 0
		.amdhsa_exception_fp_ieee_underflow 0
		.amdhsa_exception_fp_ieee_inexact 0
		.amdhsa_exception_int_div_zero 0
	.end_amdhsa_kernel
	.section	.text._Z6kernelI23blocked_to_warp_stripediLj256ELj8ELj100EEvPKT0_PKjPS1_,"axG",@progbits,_Z6kernelI23blocked_to_warp_stripediLj256ELj8ELj100EEvPKT0_PKjPS1_,comdat
.Lfunc_end65:
	.size	_Z6kernelI23blocked_to_warp_stripediLj256ELj8ELj100EEvPKT0_PKjPS1_, .Lfunc_end65-_Z6kernelI23blocked_to_warp_stripediLj256ELj8ELj100EEvPKT0_PKjPS1_
                                        ; -- End function
	.section	.AMDGPU.csdata,"",@progbits
; Kernel info:
; codeLenInByte = 504
; NumSgprs: 11
; NumVgprs: 20
; NumAgprs: 0
; TotalNumVgprs: 20
; ScratchSize: 0
; MemoryBound: 0
; FloatMode: 240
; IeeeMode: 1
; LDSByteSize: 8448 bytes/workgroup (compile time only)
; SGPRBlocks: 1
; VGPRBlocks: 2
; NumSGPRsForWavesPerEU: 11
; NumVGPRsForWavesPerEU: 20
; AccumOffset: 20
; Occupancy: 7
; WaveLimiterHint : 1
; COMPUTE_PGM_RSRC2:SCRATCH_EN: 0
; COMPUTE_PGM_RSRC2:USER_SGPR: 6
; COMPUTE_PGM_RSRC2:TRAP_HANDLER: 0
; COMPUTE_PGM_RSRC2:TGID_X_EN: 1
; COMPUTE_PGM_RSRC2:TGID_Y_EN: 0
; COMPUTE_PGM_RSRC2:TGID_Z_EN: 0
; COMPUTE_PGM_RSRC2:TIDIG_COMP_CNT: 0
; COMPUTE_PGM_RSRC3_GFX90A:ACCUM_OFFSET: 4
; COMPUTE_PGM_RSRC3_GFX90A:TG_SPLIT: 0
	.section	.text._Z6kernelI23blocked_to_warp_stripedaLj256ELj1ELj100EEvPKT0_PKjPS1_,"axG",@progbits,_Z6kernelI23blocked_to_warp_stripedaLj256ELj1ELj100EEvPKT0_PKjPS1_,comdat
	.protected	_Z6kernelI23blocked_to_warp_stripedaLj256ELj1ELj100EEvPKT0_PKjPS1_ ; -- Begin function _Z6kernelI23blocked_to_warp_stripedaLj256ELj1ELj100EEvPKT0_PKjPS1_
	.globl	_Z6kernelI23blocked_to_warp_stripedaLj256ELj1ELj100EEvPKT0_PKjPS1_
	.p2align	8
	.type	_Z6kernelI23blocked_to_warp_stripedaLj256ELj1ELj100EEvPKT0_PKjPS1_,@function
_Z6kernelI23blocked_to_warp_stripedaLj256ELj1ELj100EEvPKT0_PKjPS1_: ; @_Z6kernelI23blocked_to_warp_stripedaLj256ELj1ELj100EEvPKT0_PKjPS1_
; %bb.0:
	s_load_dwordx2 s[2:3], s[4:5], 0x0
	s_lshl_b32 s0, s6, 8
	v_mbcnt_lo_u32_b32 v2, -1, 0
	v_mbcnt_hi_u32_b32 v2, -1, v2
	s_movk_i32 s1, 0x64
	s_waitcnt lgkmcnt(0)
	s_add_u32 s2, s2, s0
	s_addc_u32 s3, s3, 0
	global_load_ubyte v1, v0, s[2:3]
	v_and_b32_e32 v0, 0xc0, v0
	v_add_u32_e32 v3, v2, v0
.LBB66_1:                               ; =>This Inner Loop Header: Depth=1
	s_waitcnt vmcnt(0)
	ds_write_b8 v3, v1
	; wave barrier
	ds_read_u8 v1, v3
	s_add_i32 s1, s1, -1
	s_cmp_lg_u32 s1, 0
	s_waitcnt lgkmcnt(0)
	s_barrier
	s_cbranch_scc1 .LBB66_1
; %bb.2:
	s_load_dwordx2 s[2:3], s[4:5], 0x10
	s_waitcnt lgkmcnt(0)
	s_add_u32 s0, s2, s0
	s_addc_u32 s1, s3, 0
	v_mov_b32_e32 v3, s1
	v_add_co_u32_e32 v2, vcc, s0, v2
	v_addc_co_u32_e32 v3, vcc, 0, v3, vcc
	v_add_co_u32_e32 v2, vcc, v2, v0
	v_addc_co_u32_e32 v3, vcc, 0, v3, vcc
	global_store_byte v[2:3], v1, off
	s_endpgm
	.section	.rodata,"a",@progbits
	.p2align	6, 0x0
	.amdhsa_kernel _Z6kernelI23blocked_to_warp_stripedaLj256ELj1ELj100EEvPKT0_PKjPS1_
		.amdhsa_group_segment_fixed_size 256
		.amdhsa_private_segment_fixed_size 0
		.amdhsa_kernarg_size 24
		.amdhsa_user_sgpr_count 6
		.amdhsa_user_sgpr_private_segment_buffer 1
		.amdhsa_user_sgpr_dispatch_ptr 0
		.amdhsa_user_sgpr_queue_ptr 0
		.amdhsa_user_sgpr_kernarg_segment_ptr 1
		.amdhsa_user_sgpr_dispatch_id 0
		.amdhsa_user_sgpr_flat_scratch_init 0
		.amdhsa_user_sgpr_kernarg_preload_length 0
		.amdhsa_user_sgpr_kernarg_preload_offset 0
		.amdhsa_user_sgpr_private_segment_size 0
		.amdhsa_uses_dynamic_stack 0
		.amdhsa_system_sgpr_private_segment_wavefront_offset 0
		.amdhsa_system_sgpr_workgroup_id_x 1
		.amdhsa_system_sgpr_workgroup_id_y 0
		.amdhsa_system_sgpr_workgroup_id_z 0
		.amdhsa_system_sgpr_workgroup_info 0
		.amdhsa_system_vgpr_workitem_id 0
		.amdhsa_next_free_vgpr 4
		.amdhsa_next_free_sgpr 7
		.amdhsa_accum_offset 4
		.amdhsa_reserve_vcc 1
		.amdhsa_reserve_flat_scratch 0
		.amdhsa_float_round_mode_32 0
		.amdhsa_float_round_mode_16_64 0
		.amdhsa_float_denorm_mode_32 3
		.amdhsa_float_denorm_mode_16_64 3
		.amdhsa_dx10_clamp 1
		.amdhsa_ieee_mode 1
		.amdhsa_fp16_overflow 0
		.amdhsa_tg_split 0
		.amdhsa_exception_fp_ieee_invalid_op 0
		.amdhsa_exception_fp_denorm_src 0
		.amdhsa_exception_fp_ieee_div_zero 0
		.amdhsa_exception_fp_ieee_overflow 0
		.amdhsa_exception_fp_ieee_underflow 0
		.amdhsa_exception_fp_ieee_inexact 0
		.amdhsa_exception_int_div_zero 0
	.end_amdhsa_kernel
	.section	.text._Z6kernelI23blocked_to_warp_stripedaLj256ELj1ELj100EEvPKT0_PKjPS1_,"axG",@progbits,_Z6kernelI23blocked_to_warp_stripedaLj256ELj1ELj100EEvPKT0_PKjPS1_,comdat
.Lfunc_end66:
	.size	_Z6kernelI23blocked_to_warp_stripedaLj256ELj1ELj100EEvPKT0_PKjPS1_, .Lfunc_end66-_Z6kernelI23blocked_to_warp_stripedaLj256ELj1ELj100EEvPKT0_PKjPS1_
                                        ; -- End function
	.section	.AMDGPU.csdata,"",@progbits
; Kernel info:
; codeLenInByte = 156
; NumSgprs: 11
; NumVgprs: 4
; NumAgprs: 0
; TotalNumVgprs: 4
; ScratchSize: 0
; MemoryBound: 0
; FloatMode: 240
; IeeeMode: 1
; LDSByteSize: 256 bytes/workgroup (compile time only)
; SGPRBlocks: 1
; VGPRBlocks: 0
; NumSGPRsForWavesPerEU: 11
; NumVGPRsForWavesPerEU: 4
; AccumOffset: 4
; Occupancy: 8
; WaveLimiterHint : 0
; COMPUTE_PGM_RSRC2:SCRATCH_EN: 0
; COMPUTE_PGM_RSRC2:USER_SGPR: 6
; COMPUTE_PGM_RSRC2:TRAP_HANDLER: 0
; COMPUTE_PGM_RSRC2:TGID_X_EN: 1
; COMPUTE_PGM_RSRC2:TGID_Y_EN: 0
; COMPUTE_PGM_RSRC2:TGID_Z_EN: 0
; COMPUTE_PGM_RSRC2:TIDIG_COMP_CNT: 0
; COMPUTE_PGM_RSRC3_GFX90A:ACCUM_OFFSET: 0
; COMPUTE_PGM_RSRC3_GFX90A:TG_SPLIT: 0
	.section	.text._Z6kernelI23blocked_to_warp_stripedaLj256ELj2ELj100EEvPKT0_PKjPS1_,"axG",@progbits,_Z6kernelI23blocked_to_warp_stripedaLj256ELj2ELj100EEvPKT0_PKjPS1_,comdat
	.protected	_Z6kernelI23blocked_to_warp_stripedaLj256ELj2ELj100EEvPKT0_PKjPS1_ ; -- Begin function _Z6kernelI23blocked_to_warp_stripedaLj256ELj2ELj100EEvPKT0_PKjPS1_
	.globl	_Z6kernelI23blocked_to_warp_stripedaLj256ELj2ELj100EEvPKT0_PKjPS1_
	.p2align	8
	.type	_Z6kernelI23blocked_to_warp_stripedaLj256ELj2ELj100EEvPKT0_PKjPS1_,@function
_Z6kernelI23blocked_to_warp_stripedaLj256ELj2ELj100EEvPKT0_PKjPS1_: ; @_Z6kernelI23blocked_to_warp_stripedaLj256ELj2ELj100EEvPKT0_PKjPS1_
; %bb.0:
	s_load_dwordx2 s[2:3], s[4:5], 0x0
	s_lshl_b32 s0, s6, 9
	v_lshlrev_b32_e32 v4, 1, v0
	v_mbcnt_lo_u32_b32 v1, -1, 0
	v_mbcnt_hi_u32_b32 v1, -1, v1
	s_waitcnt lgkmcnt(0)
	s_add_u32 s2, s2, s0
	s_addc_u32 s3, s3, 0
	global_load_ushort v3, v4, s[2:3]
	v_and_b32_e32 v0, 0xc0, v0
	v_add_u32_e32 v0, v1, v0
	v_lshrrev_b32_e32 v2, 4, v0
	v_and_b32_e32 v2, 28, v2
	v_lshl_add_u32 v2, v0, 1, v2
	v_and_b32_e32 v0, 0x180, v4
	v_or_b32_e32 v5, v1, v0
	v_add_u32_e32 v6, 64, v5
	v_lshrrev_b32_e32 v6, 5, v6
	v_lshrrev_b32_e32 v4, 5, v0
	v_and_b32_e32 v6, 28, v6
	v_add_u32_e32 v4, v4, v5
	v_add_u32_e32 v6, v6, v5
	s_movk_i32 s1, 0x64
.LBB67_1:                               ; =>This Inner Loop Header: Depth=1
	s_waitcnt vmcnt(0)
	ds_write_b16 v2, v3
	; wave barrier
	ds_read_u8 v5, v6 offset:64
	ds_read_u8 v7, v4
	s_add_i32 s1, s1, -1
	s_cmp_lg_u32 s1, 0
	s_waitcnt lgkmcnt(0)
	v_lshlrev_b16_e32 v3, 8, v5
	v_or_b32_e32 v3, v7, v3
	v_and_b32_e32 v3, 0xffff, v3
	s_barrier
	s_cbranch_scc1 .LBB67_1
; %bb.2:
	s_load_dwordx2 s[2:3], s[4:5], 0x10
	s_waitcnt lgkmcnt(0)
	s_add_u32 s0, s2, s0
	s_addc_u32 s1, s3, 0
	v_mov_b32_e32 v2, s1
	v_add_co_u32_e32 v1, vcc, s0, v1
	v_addc_co_u32_e32 v2, vcc, 0, v2, vcc
	v_add_co_u32_e32 v0, vcc, v1, v0
	v_addc_co_u32_e32 v1, vcc, 0, v2, vcc
	global_store_byte v[0:1], v7, off
	global_store_byte v[0:1], v5, off offset:64
	s_endpgm
	.section	.rodata,"a",@progbits
	.p2align	6, 0x0
	.amdhsa_kernel _Z6kernelI23blocked_to_warp_stripedaLj256ELj2ELj100EEvPKT0_PKjPS1_
		.amdhsa_group_segment_fixed_size 528
		.amdhsa_private_segment_fixed_size 0
		.amdhsa_kernarg_size 24
		.amdhsa_user_sgpr_count 6
		.amdhsa_user_sgpr_private_segment_buffer 1
		.amdhsa_user_sgpr_dispatch_ptr 0
		.amdhsa_user_sgpr_queue_ptr 0
		.amdhsa_user_sgpr_kernarg_segment_ptr 1
		.amdhsa_user_sgpr_dispatch_id 0
		.amdhsa_user_sgpr_flat_scratch_init 0
		.amdhsa_user_sgpr_kernarg_preload_length 0
		.amdhsa_user_sgpr_kernarg_preload_offset 0
		.amdhsa_user_sgpr_private_segment_size 0
		.amdhsa_uses_dynamic_stack 0
		.amdhsa_system_sgpr_private_segment_wavefront_offset 0
		.amdhsa_system_sgpr_workgroup_id_x 1
		.amdhsa_system_sgpr_workgroup_id_y 0
		.amdhsa_system_sgpr_workgroup_id_z 0
		.amdhsa_system_sgpr_workgroup_info 0
		.amdhsa_system_vgpr_workitem_id 0
		.amdhsa_next_free_vgpr 8
		.amdhsa_next_free_sgpr 7
		.amdhsa_accum_offset 8
		.amdhsa_reserve_vcc 1
		.amdhsa_reserve_flat_scratch 0
		.amdhsa_float_round_mode_32 0
		.amdhsa_float_round_mode_16_64 0
		.amdhsa_float_denorm_mode_32 3
		.amdhsa_float_denorm_mode_16_64 3
		.amdhsa_dx10_clamp 1
		.amdhsa_ieee_mode 1
		.amdhsa_fp16_overflow 0
		.amdhsa_tg_split 0
		.amdhsa_exception_fp_ieee_invalid_op 0
		.amdhsa_exception_fp_denorm_src 0
		.amdhsa_exception_fp_ieee_div_zero 0
		.amdhsa_exception_fp_ieee_overflow 0
		.amdhsa_exception_fp_ieee_underflow 0
		.amdhsa_exception_fp_ieee_inexact 0
		.amdhsa_exception_int_div_zero 0
	.end_amdhsa_kernel
	.section	.text._Z6kernelI23blocked_to_warp_stripedaLj256ELj2ELj100EEvPKT0_PKjPS1_,"axG",@progbits,_Z6kernelI23blocked_to_warp_stripedaLj256ELj2ELj100EEvPKT0_PKjPS1_,comdat
.Lfunc_end67:
	.size	_Z6kernelI23blocked_to_warp_stripedaLj256ELj2ELj100EEvPKT0_PKjPS1_, .Lfunc_end67-_Z6kernelI23blocked_to_warp_stripedaLj256ELj2ELj100EEvPKT0_PKjPS1_
                                        ; -- End function
	.section	.AMDGPU.csdata,"",@progbits
; Kernel info:
; codeLenInByte = 244
; NumSgprs: 11
; NumVgprs: 8
; NumAgprs: 0
; TotalNumVgprs: 8
; ScratchSize: 0
; MemoryBound: 0
; FloatMode: 240
; IeeeMode: 1
; LDSByteSize: 528 bytes/workgroup (compile time only)
; SGPRBlocks: 1
; VGPRBlocks: 0
; NumSGPRsForWavesPerEU: 11
; NumVGPRsForWavesPerEU: 8
; AccumOffset: 8
; Occupancy: 8
; WaveLimiterHint : 0
; COMPUTE_PGM_RSRC2:SCRATCH_EN: 0
; COMPUTE_PGM_RSRC2:USER_SGPR: 6
; COMPUTE_PGM_RSRC2:TRAP_HANDLER: 0
; COMPUTE_PGM_RSRC2:TGID_X_EN: 1
; COMPUTE_PGM_RSRC2:TGID_Y_EN: 0
; COMPUTE_PGM_RSRC2:TGID_Z_EN: 0
; COMPUTE_PGM_RSRC2:TIDIG_COMP_CNT: 0
; COMPUTE_PGM_RSRC3_GFX90A:ACCUM_OFFSET: 1
; COMPUTE_PGM_RSRC3_GFX90A:TG_SPLIT: 0
	.section	.text._Z6kernelI23blocked_to_warp_stripedaLj256ELj3ELj100EEvPKT0_PKjPS1_,"axG",@progbits,_Z6kernelI23blocked_to_warp_stripedaLj256ELj3ELj100EEvPKT0_PKjPS1_,comdat
	.protected	_Z6kernelI23blocked_to_warp_stripedaLj256ELj3ELj100EEvPKT0_PKjPS1_ ; -- Begin function _Z6kernelI23blocked_to_warp_stripedaLj256ELj3ELj100EEvPKT0_PKjPS1_
	.globl	_Z6kernelI23blocked_to_warp_stripedaLj256ELj3ELj100EEvPKT0_PKjPS1_
	.p2align	8
	.type	_Z6kernelI23blocked_to_warp_stripedaLj256ELj3ELj100EEvPKT0_PKjPS1_,@function
_Z6kernelI23blocked_to_warp_stripedaLj256ELj3ELj100EEvPKT0_PKjPS1_: ; @_Z6kernelI23blocked_to_warp_stripedaLj256ELj3ELj100EEvPKT0_PKjPS1_
; %bb.0:
	s_load_dwordx2 s[2:3], s[4:5], 0x0
	s_mul_i32 s0, s6, 0x300
	v_mul_u32_u24_e32 v1, 3, v0
	v_mov_b32_e32 v5, 8
	v_lshrrev_b32_e32 v2, 6, v0
	s_waitcnt lgkmcnt(0)
	s_add_u32 s2, s2, s0
	s_addc_u32 s3, s3, 0
	global_load_ushort v3, v1, s[2:3]
	global_load_ubyte v4, v1, s[2:3] offset:2
	v_mbcnt_lo_u32_b32 v1, -1, 0
	v_mbcnt_hi_u32_b32 v1, -1, v1
	s_movk_i32 s2, 0xc0
	v_mul_u32_u24_e32 v6, 0xc0, v2
	v_mul_u32_u24_e32 v8, 3, v1
	s_movk_i32 s1, 0x64
	v_mad_u32_u24 v2, v2, s2, v1
	v_add_u32_e32 v6, v8, v6
	s_waitcnt vmcnt(1)
	v_lshrrev_b32_sdwa v5, v5, v3 dst_sel:BYTE_1 dst_unused:UNUSED_PAD src0_sel:DWORD src1_sel:DWORD
	v_or_b32_sdwa v3, v3, v5 dst_sel:DWORD dst_unused:UNUSED_PAD src0_sel:BYTE_0 src1_sel:DWORD
	v_and_b32_e32 v3, 0xffff, v3
	s_waitcnt vmcnt(0)
	v_lshl_or_b32 v7, v4, 16, v3
.LBB68_1:                               ; =>This Inner Loop Header: Depth=1
	v_lshrrev_b32_e32 v3, 8, v7
	ds_write_b8 v6, v7
	ds_write_b8 v6, v3 offset:1
	ds_write_b8_d16_hi v6, v7 offset:2
	; wave barrier
	ds_read_u8 v3, v2 offset:64
	ds_read_u8 v5, v2
	ds_read_u8 v4, v2 offset:128
	s_add_i32 s1, s1, -1
	s_cmp_lg_u32 s1, 0
	s_waitcnt lgkmcnt(2)
	v_lshlrev_b16_e32 v7, 8, v3
	s_waitcnt lgkmcnt(1)
	v_or_b32_e32 v7, v5, v7
	s_waitcnt lgkmcnt(0)
	v_lshlrev_b32_e32 v8, 16, v4
	v_or_b32_sdwa v7, v7, v8 dst_sel:DWORD dst_unused:UNUSED_PAD src0_sel:WORD_0 src1_sel:DWORD
	s_barrier
	s_cbranch_scc1 .LBB68_1
; %bb.2:
	s_load_dwordx2 s[2:3], s[4:5], 0x10
	v_and_b32_e32 v0, 0xc0, v0
	v_mul_u32_u24_e32 v0, 3, v0
	s_waitcnt lgkmcnt(0)
	s_add_u32 s0, s2, s0
	s_addc_u32 s1, s3, 0
	v_mov_b32_e32 v2, s1
	v_add_co_u32_e32 v1, vcc, s0, v1
	v_addc_co_u32_e32 v2, vcc, 0, v2, vcc
	v_add_co_u32_e32 v0, vcc, v1, v0
	v_addc_co_u32_e32 v1, vcc, 0, v2, vcc
	global_store_byte v[0:1], v5, off
	global_store_byte v[0:1], v3, off offset:64
	global_store_byte v[0:1], v4, off offset:128
	s_endpgm
	.section	.rodata,"a",@progbits
	.p2align	6, 0x0
	.amdhsa_kernel _Z6kernelI23blocked_to_warp_stripedaLj256ELj3ELj100EEvPKT0_PKjPS1_
		.amdhsa_group_segment_fixed_size 768
		.amdhsa_private_segment_fixed_size 0
		.amdhsa_kernarg_size 24
		.amdhsa_user_sgpr_count 6
		.amdhsa_user_sgpr_private_segment_buffer 1
		.amdhsa_user_sgpr_dispatch_ptr 0
		.amdhsa_user_sgpr_queue_ptr 0
		.amdhsa_user_sgpr_kernarg_segment_ptr 1
		.amdhsa_user_sgpr_dispatch_id 0
		.amdhsa_user_sgpr_flat_scratch_init 0
		.amdhsa_user_sgpr_kernarg_preload_length 0
		.amdhsa_user_sgpr_kernarg_preload_offset 0
		.amdhsa_user_sgpr_private_segment_size 0
		.amdhsa_uses_dynamic_stack 0
		.amdhsa_system_sgpr_private_segment_wavefront_offset 0
		.amdhsa_system_sgpr_workgroup_id_x 1
		.amdhsa_system_sgpr_workgroup_id_y 0
		.amdhsa_system_sgpr_workgroup_id_z 0
		.amdhsa_system_sgpr_workgroup_info 0
		.amdhsa_system_vgpr_workitem_id 0
		.amdhsa_next_free_vgpr 9
		.amdhsa_next_free_sgpr 7
		.amdhsa_accum_offset 12
		.amdhsa_reserve_vcc 1
		.amdhsa_reserve_flat_scratch 0
		.amdhsa_float_round_mode_32 0
		.amdhsa_float_round_mode_16_64 0
		.amdhsa_float_denorm_mode_32 3
		.amdhsa_float_denorm_mode_16_64 3
		.amdhsa_dx10_clamp 1
		.amdhsa_ieee_mode 1
		.amdhsa_fp16_overflow 0
		.amdhsa_tg_split 0
		.amdhsa_exception_fp_ieee_invalid_op 0
		.amdhsa_exception_fp_denorm_src 0
		.amdhsa_exception_fp_ieee_div_zero 0
		.amdhsa_exception_fp_ieee_overflow 0
		.amdhsa_exception_fp_ieee_underflow 0
		.amdhsa_exception_fp_ieee_inexact 0
		.amdhsa_exception_int_div_zero 0
	.end_amdhsa_kernel
	.section	.text._Z6kernelI23blocked_to_warp_stripedaLj256ELj3ELj100EEvPKT0_PKjPS1_,"axG",@progbits,_Z6kernelI23blocked_to_warp_stripedaLj256ELj3ELj100EEvPKT0_PKjPS1_,comdat
.Lfunc_end68:
	.size	_Z6kernelI23blocked_to_warp_stripedaLj256ELj3ELj100EEvPKT0_PKjPS1_, .Lfunc_end68-_Z6kernelI23blocked_to_warp_stripedaLj256ELj3ELj100EEvPKT0_PKjPS1_
                                        ; -- End function
	.section	.AMDGPU.csdata,"",@progbits
; Kernel info:
; codeLenInByte = 324
; NumSgprs: 11
; NumVgprs: 9
; NumAgprs: 0
; TotalNumVgprs: 9
; ScratchSize: 0
; MemoryBound: 0
; FloatMode: 240
; IeeeMode: 1
; LDSByteSize: 768 bytes/workgroup (compile time only)
; SGPRBlocks: 1
; VGPRBlocks: 1
; NumSGPRsForWavesPerEU: 11
; NumVGPRsForWavesPerEU: 9
; AccumOffset: 12
; Occupancy: 8
; WaveLimiterHint : 0
; COMPUTE_PGM_RSRC2:SCRATCH_EN: 0
; COMPUTE_PGM_RSRC2:USER_SGPR: 6
; COMPUTE_PGM_RSRC2:TRAP_HANDLER: 0
; COMPUTE_PGM_RSRC2:TGID_X_EN: 1
; COMPUTE_PGM_RSRC2:TGID_Y_EN: 0
; COMPUTE_PGM_RSRC2:TGID_Z_EN: 0
; COMPUTE_PGM_RSRC2:TIDIG_COMP_CNT: 0
; COMPUTE_PGM_RSRC3_GFX90A:ACCUM_OFFSET: 2
; COMPUTE_PGM_RSRC3_GFX90A:TG_SPLIT: 0
	.section	.text._Z6kernelI23blocked_to_warp_stripedaLj256ELj4ELj100EEvPKT0_PKjPS1_,"axG",@progbits,_Z6kernelI23blocked_to_warp_stripedaLj256ELj4ELj100EEvPKT0_PKjPS1_,comdat
	.protected	_Z6kernelI23blocked_to_warp_stripedaLj256ELj4ELj100EEvPKT0_PKjPS1_ ; -- Begin function _Z6kernelI23blocked_to_warp_stripedaLj256ELj4ELj100EEvPKT0_PKjPS1_
	.globl	_Z6kernelI23blocked_to_warp_stripedaLj256ELj4ELj100EEvPKT0_PKjPS1_
	.p2align	8
	.type	_Z6kernelI23blocked_to_warp_stripedaLj256ELj4ELj100EEvPKT0_PKjPS1_,@function
_Z6kernelI23blocked_to_warp_stripedaLj256ELj4ELj100EEvPKT0_PKjPS1_: ; @_Z6kernelI23blocked_to_warp_stripedaLj256ELj4ELj100EEvPKT0_PKjPS1_
; %bb.0:
	s_load_dwordx2 s[2:3], s[4:5], 0x0
	s_lshl_b32 s0, s6, 10
	v_lshlrev_b32_e32 v2, 2, v0
	v_mbcnt_lo_u32_b32 v1, -1, 0
	v_mbcnt_hi_u32_b32 v1, -1, v1
	s_waitcnt lgkmcnt(0)
	s_add_u32 s2, s2, s0
	s_addc_u32 s3, s3, 0
	global_load_dword v3, v2, s[2:3]
	v_and_b32_e32 v0, 0xc0, v0
	v_add_u32_e32 v0, v1, v0
	v_lshlrev_b32_e32 v6, 2, v0
	v_lshrrev_b32_e32 v0, 3, v0
	v_and_b32_e32 v8, 60, v0
	v_and_b32_e32 v0, 0x300, v2
	v_or_b32_e32 v7, v1, v0
	v_add_u32_e32 v4, 64, v7
	v_add_u32_e32 v9, 0xc0, v7
	v_lshrrev_b32_e32 v4, 5, v4
	v_or_b32_e32 v5, 0x80, v0
	v_lshrrev_b32_e32 v9, 5, v9
	v_lshrrev_b32_e32 v2, 5, v0
	v_and_b32_e32 v4, 28, v4
	v_lshrrev_b32_e32 v5, 5, v5
	v_and_b32_e32 v9, 60, v9
	v_add_u32_e32 v2, v2, v7
	v_add_u32_e32 v4, v4, v7
	;; [unrolled: 1-line block ×4, first 2 shown]
	s_movk_i32 s1, 0x64
	v_add_u32_e32 v10, v8, v6
.LBB69_1:                               ; =>This Inner Loop Header: Depth=1
	s_waitcnt vmcnt(0)
	ds_write_b32 v10, v3
	; wave barrier
	ds_read_u8 v6, v4 offset:64
	ds_read_u8 v9, v2
	ds_read_u8 v8, v7 offset:192
	ds_read_u8 v11, v5 offset:128
	s_add_i32 s1, s1, -1
	s_waitcnt lgkmcnt(3)
	v_lshlrev_b16_e32 v3, 8, v6
	s_waitcnt lgkmcnt(2)
	v_or_b32_e32 v3, v9, v3
	s_waitcnt lgkmcnt(1)
	v_lshlrev_b16_e32 v12, 8, v8
	s_waitcnt lgkmcnt(0)
	v_or_b32_sdwa v12, v11, v12 dst_sel:WORD_1 dst_unused:UNUSED_PAD src0_sel:DWORD src1_sel:DWORD
	v_or_b32_sdwa v3, v3, v12 dst_sel:DWORD dst_unused:UNUSED_PAD src0_sel:WORD_0 src1_sel:DWORD
	s_cmp_lg_u32 s1, 0
	s_barrier
	s_cbranch_scc1 .LBB69_1
; %bb.2:
	s_load_dwordx2 s[2:3], s[4:5], 0x10
	s_waitcnt lgkmcnt(0)
	s_add_u32 s0, s2, s0
	s_addc_u32 s1, s3, 0
	v_mov_b32_e32 v2, s1
	v_add_co_u32_e32 v1, vcc, s0, v1
	v_addc_co_u32_e32 v2, vcc, 0, v2, vcc
	v_add_co_u32_e32 v0, vcc, v1, v0
	v_addc_co_u32_e32 v1, vcc, 0, v2, vcc
	global_store_byte v[0:1], v9, off
	global_store_byte v[0:1], v6, off offset:64
	global_store_byte v[0:1], v11, off offset:128
	;; [unrolled: 1-line block ×3, first 2 shown]
	s_endpgm
	.section	.rodata,"a",@progbits
	.p2align	6, 0x0
	.amdhsa_kernel _Z6kernelI23blocked_to_warp_stripedaLj256ELj4ELj100EEvPKT0_PKjPS1_
		.amdhsa_group_segment_fixed_size 1056
		.amdhsa_private_segment_fixed_size 0
		.amdhsa_kernarg_size 24
		.amdhsa_user_sgpr_count 6
		.amdhsa_user_sgpr_private_segment_buffer 1
		.amdhsa_user_sgpr_dispatch_ptr 0
		.amdhsa_user_sgpr_queue_ptr 0
		.amdhsa_user_sgpr_kernarg_segment_ptr 1
		.amdhsa_user_sgpr_dispatch_id 0
		.amdhsa_user_sgpr_flat_scratch_init 0
		.amdhsa_user_sgpr_kernarg_preload_length 0
		.amdhsa_user_sgpr_kernarg_preload_offset 0
		.amdhsa_user_sgpr_private_segment_size 0
		.amdhsa_uses_dynamic_stack 0
		.amdhsa_system_sgpr_private_segment_wavefront_offset 0
		.amdhsa_system_sgpr_workgroup_id_x 1
		.amdhsa_system_sgpr_workgroup_id_y 0
		.amdhsa_system_sgpr_workgroup_id_z 0
		.amdhsa_system_sgpr_workgroup_info 0
		.amdhsa_system_vgpr_workitem_id 0
		.amdhsa_next_free_vgpr 13
		.amdhsa_next_free_sgpr 7
		.amdhsa_accum_offset 16
		.amdhsa_reserve_vcc 1
		.amdhsa_reserve_flat_scratch 0
		.amdhsa_float_round_mode_32 0
		.amdhsa_float_round_mode_16_64 0
		.amdhsa_float_denorm_mode_32 3
		.amdhsa_float_denorm_mode_16_64 3
		.amdhsa_dx10_clamp 1
		.amdhsa_ieee_mode 1
		.amdhsa_fp16_overflow 0
		.amdhsa_tg_split 0
		.amdhsa_exception_fp_ieee_invalid_op 0
		.amdhsa_exception_fp_denorm_src 0
		.amdhsa_exception_fp_ieee_div_zero 0
		.amdhsa_exception_fp_ieee_overflow 0
		.amdhsa_exception_fp_ieee_underflow 0
		.amdhsa_exception_fp_ieee_inexact 0
		.amdhsa_exception_int_div_zero 0
	.end_amdhsa_kernel
	.section	.text._Z6kernelI23blocked_to_warp_stripedaLj256ELj4ELj100EEvPKT0_PKjPS1_,"axG",@progbits,_Z6kernelI23blocked_to_warp_stripedaLj256ELj4ELj100EEvPKT0_PKjPS1_,comdat
.Lfunc_end69:
	.size	_Z6kernelI23blocked_to_warp_stripedaLj256ELj4ELj100EEvPKT0_PKjPS1_, .Lfunc_end69-_Z6kernelI23blocked_to_warp_stripedaLj256ELj4ELj100EEvPKT0_PKjPS1_
                                        ; -- End function
	.section	.AMDGPU.csdata,"",@progbits
; Kernel info:
; codeLenInByte = 336
; NumSgprs: 11
; NumVgprs: 13
; NumAgprs: 0
; TotalNumVgprs: 13
; ScratchSize: 0
; MemoryBound: 0
; FloatMode: 240
; IeeeMode: 1
; LDSByteSize: 1056 bytes/workgroup (compile time only)
; SGPRBlocks: 1
; VGPRBlocks: 1
; NumSGPRsForWavesPerEU: 11
; NumVGPRsForWavesPerEU: 13
; AccumOffset: 16
; Occupancy: 8
; WaveLimiterHint : 0
; COMPUTE_PGM_RSRC2:SCRATCH_EN: 0
; COMPUTE_PGM_RSRC2:USER_SGPR: 6
; COMPUTE_PGM_RSRC2:TRAP_HANDLER: 0
; COMPUTE_PGM_RSRC2:TGID_X_EN: 1
; COMPUTE_PGM_RSRC2:TGID_Y_EN: 0
; COMPUTE_PGM_RSRC2:TGID_Z_EN: 0
; COMPUTE_PGM_RSRC2:TIDIG_COMP_CNT: 0
; COMPUTE_PGM_RSRC3_GFX90A:ACCUM_OFFSET: 3
; COMPUTE_PGM_RSRC3_GFX90A:TG_SPLIT: 0
	.section	.text._Z6kernelI23blocked_to_warp_stripedaLj256ELj7ELj100EEvPKT0_PKjPS1_,"axG",@progbits,_Z6kernelI23blocked_to_warp_stripedaLj256ELj7ELj100EEvPKT0_PKjPS1_,comdat
	.protected	_Z6kernelI23blocked_to_warp_stripedaLj256ELj7ELj100EEvPKT0_PKjPS1_ ; -- Begin function _Z6kernelI23blocked_to_warp_stripedaLj256ELj7ELj100EEvPKT0_PKjPS1_
	.globl	_Z6kernelI23blocked_to_warp_stripedaLj256ELj7ELj100EEvPKT0_PKjPS1_
	.p2align	8
	.type	_Z6kernelI23blocked_to_warp_stripedaLj256ELj7ELj100EEvPKT0_PKjPS1_,@function
_Z6kernelI23blocked_to_warp_stripedaLj256ELj7ELj100EEvPKT0_PKjPS1_: ; @_Z6kernelI23blocked_to_warp_stripedaLj256ELj7ELj100EEvPKT0_PKjPS1_
; %bb.0:
	s_load_dwordx2 s[2:3], s[4:5], 0x0
	s_mul_i32 s0, s6, 0x700
	v_mul_u32_u24_e32 v3, 7, v0
	v_lshrrev_b32_e32 v5, 6, v0
	v_mov_b32_e32 v4, 8
	s_waitcnt lgkmcnt(0)
	s_add_u32 s2, s2, s0
	s_addc_u32 s3, s3, 0
	global_load_ushort v2, v3, s[2:3] offset:4
	global_load_dword v6, v3, s[2:3]
	global_load_sbyte v1, v3, s[2:3] offset:6
	v_mbcnt_lo_u32_b32 v3, -1, 0
	v_mbcnt_hi_u32_b32 v3, -1, v3
	s_movk_i32 s2, 0x1c0
	s_mov_b32 s3, 0x3020104
	v_mul_u32_u24_e32 v7, 0x1c0, v5
	v_mul_u32_u24_e32 v8, 7, v3
	s_movk_i32 s1, 0x64
	v_mad_u32_u24 v5, v5, s2, v3
	s_waitcnt vmcnt(2)
	v_lshrrev_b32_sdwa v4, v4, v2 dst_sel:DWORD dst_unused:UNUSED_PAD src0_sel:DWORD src1_sel:WORD_0
	s_waitcnt vmcnt(1)
	v_perm_b32 v11, v6, v6, s3
	v_add_u32_e32 v6, v8, v7
.LBB70_1:                               ; =>This Inner Loop Header: Depth=1
	v_lshrrev_b32_e32 v7, 8, v11
	ds_write_b8 v6, v11
	ds_write_b8 v6, v7 offset:1
	ds_write_b8_d16_hi v6, v11 offset:2
	v_lshrrev_b32_e32 v7, 24, v11
	ds_write_b8 v6, v7 offset:3
	ds_write_b8 v6, v2 offset:4
	;; [unrolled: 1-line block ×3, first 2 shown]
	s_waitcnt vmcnt(0)
	ds_write_b8 v6, v1 offset:6
	; wave barrier
	ds_read_u8 v7, v5
	ds_read_u8 v8, v5 offset:64
	ds_read_u8 v9, v5 offset:128
	;; [unrolled: 1-line block ×6, first 2 shown]
	s_waitcnt lgkmcnt(5)
	v_lshlrev_b16_e32 v11, 8, v8
	s_waitcnt lgkmcnt(3)
	v_lshlrev_b16_e32 v12, 8, v10
	v_or_b32_e32 v11, v7, v11
	v_or_b32_sdwa v12, v9, v12 dst_sel:WORD_1 dst_unused:UNUSED_PAD src0_sel:DWORD src1_sel:DWORD
	s_add_i32 s1, s1, -1
	s_cmp_lg_u32 s1, 0
	v_or_b32_sdwa v11, v11, v12 dst_sel:DWORD dst_unused:UNUSED_PAD src0_sel:WORD_0 src1_sel:DWORD
	s_waitcnt lgkmcnt(0)
	s_barrier
	s_cbranch_scc1 .LBB70_1
; %bb.2:
	s_load_dwordx2 s[2:3], s[4:5], 0x10
	v_and_b32_e32 v0, 0xc0, v0
	v_mul_u32_u24_e32 v0, 7, v0
	s_waitcnt lgkmcnt(0)
	s_add_u32 s0, s2, s0
	s_addc_u32 s1, s3, 0
	v_mov_b32_e32 v5, s1
	v_add_co_u32_e32 v3, vcc, s0, v3
	v_addc_co_u32_e32 v5, vcc, 0, v5, vcc
	v_add_co_u32_e32 v12, vcc, v3, v0
	v_addc_co_u32_e32 v13, vcc, 0, v5, vcc
	global_store_byte v[12:13], v7, off
	global_store_byte v[12:13], v8, off offset:64
	global_store_byte v[12:13], v9, off offset:128
	;; [unrolled: 1-line block ×6, first 2 shown]
	s_endpgm
	.section	.rodata,"a",@progbits
	.p2align	6, 0x0
	.amdhsa_kernel _Z6kernelI23blocked_to_warp_stripedaLj256ELj7ELj100EEvPKT0_PKjPS1_
		.amdhsa_group_segment_fixed_size 1792
		.amdhsa_private_segment_fixed_size 0
		.amdhsa_kernarg_size 24
		.amdhsa_user_sgpr_count 6
		.amdhsa_user_sgpr_private_segment_buffer 1
		.amdhsa_user_sgpr_dispatch_ptr 0
		.amdhsa_user_sgpr_queue_ptr 0
		.amdhsa_user_sgpr_kernarg_segment_ptr 1
		.amdhsa_user_sgpr_dispatch_id 0
		.amdhsa_user_sgpr_flat_scratch_init 0
		.amdhsa_user_sgpr_kernarg_preload_length 0
		.amdhsa_user_sgpr_kernarg_preload_offset 0
		.amdhsa_user_sgpr_private_segment_size 0
		.amdhsa_uses_dynamic_stack 0
		.amdhsa_system_sgpr_private_segment_wavefront_offset 0
		.amdhsa_system_sgpr_workgroup_id_x 1
		.amdhsa_system_sgpr_workgroup_id_y 0
		.amdhsa_system_sgpr_workgroup_id_z 0
		.amdhsa_system_sgpr_workgroup_info 0
		.amdhsa_system_vgpr_workitem_id 0
		.amdhsa_next_free_vgpr 14
		.amdhsa_next_free_sgpr 7
		.amdhsa_accum_offset 16
		.amdhsa_reserve_vcc 1
		.amdhsa_reserve_flat_scratch 0
		.amdhsa_float_round_mode_32 0
		.amdhsa_float_round_mode_16_64 0
		.amdhsa_float_denorm_mode_32 3
		.amdhsa_float_denorm_mode_16_64 3
		.amdhsa_dx10_clamp 1
		.amdhsa_ieee_mode 1
		.amdhsa_fp16_overflow 0
		.amdhsa_tg_split 0
		.amdhsa_exception_fp_ieee_invalid_op 0
		.amdhsa_exception_fp_denorm_src 0
		.amdhsa_exception_fp_ieee_div_zero 0
		.amdhsa_exception_fp_ieee_overflow 0
		.amdhsa_exception_fp_ieee_underflow 0
		.amdhsa_exception_fp_ieee_inexact 0
		.amdhsa_exception_int_div_zero 0
	.end_amdhsa_kernel
	.section	.text._Z6kernelI23blocked_to_warp_stripedaLj256ELj7ELj100EEvPKT0_PKjPS1_,"axG",@progbits,_Z6kernelI23blocked_to_warp_stripedaLj256ELj7ELj100EEvPKT0_PKjPS1_,comdat
.Lfunc_end70:
	.size	_Z6kernelI23blocked_to_warp_stripedaLj256ELj7ELj100EEvPKT0_PKjPS1_, .Lfunc_end70-_Z6kernelI23blocked_to_warp_stripedaLj256ELj7ELj100EEvPKT0_PKjPS1_
                                        ; -- End function
	.section	.AMDGPU.csdata,"",@progbits
; Kernel info:
; codeLenInByte = 436
; NumSgprs: 11
; NumVgprs: 14
; NumAgprs: 0
; TotalNumVgprs: 14
; ScratchSize: 0
; MemoryBound: 0
; FloatMode: 240
; IeeeMode: 1
; LDSByteSize: 1792 bytes/workgroup (compile time only)
; SGPRBlocks: 1
; VGPRBlocks: 1
; NumSGPRsForWavesPerEU: 11
; NumVGPRsForWavesPerEU: 14
; AccumOffset: 16
; Occupancy: 8
; WaveLimiterHint : 0
; COMPUTE_PGM_RSRC2:SCRATCH_EN: 0
; COMPUTE_PGM_RSRC2:USER_SGPR: 6
; COMPUTE_PGM_RSRC2:TRAP_HANDLER: 0
; COMPUTE_PGM_RSRC2:TGID_X_EN: 1
; COMPUTE_PGM_RSRC2:TGID_Y_EN: 0
; COMPUTE_PGM_RSRC2:TGID_Z_EN: 0
; COMPUTE_PGM_RSRC2:TIDIG_COMP_CNT: 0
; COMPUTE_PGM_RSRC3_GFX90A:ACCUM_OFFSET: 3
; COMPUTE_PGM_RSRC3_GFX90A:TG_SPLIT: 0
	.section	.text._Z6kernelI23blocked_to_warp_stripedaLj256ELj8ELj100EEvPKT0_PKjPS1_,"axG",@progbits,_Z6kernelI23blocked_to_warp_stripedaLj256ELj8ELj100EEvPKT0_PKjPS1_,comdat
	.protected	_Z6kernelI23blocked_to_warp_stripedaLj256ELj8ELj100EEvPKT0_PKjPS1_ ; -- Begin function _Z6kernelI23blocked_to_warp_stripedaLj256ELj8ELj100EEvPKT0_PKjPS1_
	.globl	_Z6kernelI23blocked_to_warp_stripedaLj256ELj8ELj100EEvPKT0_PKjPS1_
	.p2align	8
	.type	_Z6kernelI23blocked_to_warp_stripedaLj256ELj8ELj100EEvPKT0_PKjPS1_,@function
_Z6kernelI23blocked_to_warp_stripedaLj256ELj8ELj100EEvPKT0_PKjPS1_: ; @_Z6kernelI23blocked_to_warp_stripedaLj256ELj8ELj100EEvPKT0_PKjPS1_
; %bb.0:
	s_load_dwordx2 s[2:3], s[4:5], 0x0
	s_lshl_b32 s0, s6, 11
	v_lshlrev_b32_e32 v4, 3, v0
	v_mbcnt_lo_u32_b32 v1, -1, 0
	v_mbcnt_hi_u32_b32 v1, -1, v1
	s_waitcnt lgkmcnt(0)
	s_add_u32 s2, s2, s0
	s_addc_u32 s3, s3, 0
	global_load_dwordx2 v[2:3], v4, s[2:3]
	v_and_b32_e32 v0, 0xc0, v0
	v_add_u32_e32 v0, v1, v0
	v_lshlrev_b32_e32 v12, 3, v0
	v_lshrrev_b32_e32 v0, 2, v0
	v_and_b32_e32 v13, 0x7c, v0
	v_and_b32_e32 v0, 0x600, v4
	v_or_b32_e32 v11, v1, v0
	v_add_u32_e32 v5, 64, v11
	v_add_u32_e32 v7, 0xc0, v11
	;; [unrolled: 1-line block ×4, first 2 shown]
	v_lshrrev_b32_e32 v5, 5, v5
	v_or_b32_e32 v6, 0x80, v0
	v_lshrrev_b32_e32 v7, 5, v7
	v_or_b32_e32 v8, 0x100, v0
	;; [unrolled: 2-line block ×3, first 2 shown]
	v_lshrrev_b32_e32 v14, 5, v14
	v_lshrrev_b32_e32 v4, 5, v0
	v_and_b32_e32 v5, 52, v5
	v_lshrrev_b32_e32 v6, 5, v6
	v_and_b32_e32 v7, 60, v7
	;; [unrolled: 2-line block ×4, first 2 shown]
	v_add_u32_e32 v4, v4, v11
	v_add_u32_e32 v5, v5, v11
	;; [unrolled: 1-line block ×8, first 2 shown]
	s_movk_i32 s1, 0x64
	v_add_u32_e32 v20, v13, v12
.LBB71_1:                               ; =>This Inner Loop Header: Depth=1
	s_waitcnt vmcnt(0)
	ds_write2_b32 v20, v2, v3 offset1:1
	; wave barrier
	ds_read_u8 v12, v4
	ds_read_u8 v13, v5 offset:64
	ds_read_u8 v14, v6 offset:128
	;; [unrolled: 1-line block ×7, first 2 shown]
	s_waitcnt lgkmcnt(6)
	v_lshlrev_b16_e32 v2, 8, v13
	s_waitcnt lgkmcnt(4)
	v_lshlrev_b16_e32 v3, 8, v15
	v_or_b32_e32 v2, v12, v2
	v_or_b32_sdwa v3, v14, v3 dst_sel:WORD_1 dst_unused:UNUSED_PAD src0_sel:DWORD src1_sel:DWORD
	v_or_b32_sdwa v2, v2, v3 dst_sel:DWORD dst_unused:UNUSED_PAD src0_sel:WORD_0 src1_sel:DWORD
	s_waitcnt lgkmcnt(2)
	v_lshlrev_b16_e32 v3, 8, v17
	s_waitcnt lgkmcnt(0)
	v_lshlrev_b16_e32 v21, 8, v19
	v_or_b32_e32 v3, v16, v3
	v_or_b32_sdwa v21, v18, v21 dst_sel:WORD_1 dst_unused:UNUSED_PAD src0_sel:DWORD src1_sel:DWORD
	s_add_i32 s1, s1, -1
	s_cmp_lg_u32 s1, 0
	v_or_b32_sdwa v3, v3, v21 dst_sel:DWORD dst_unused:UNUSED_PAD src0_sel:WORD_0 src1_sel:DWORD
	s_barrier
	s_cbranch_scc1 .LBB71_1
; %bb.2:
	s_load_dwordx2 s[2:3], s[4:5], 0x10
	s_waitcnt lgkmcnt(0)
	s_add_u32 s0, s2, s0
	s_addc_u32 s1, s3, 0
	v_mov_b32_e32 v2, s1
	v_add_co_u32_e32 v1, vcc, s0, v1
	v_addc_co_u32_e32 v2, vcc, 0, v2, vcc
	v_add_co_u32_e32 v0, vcc, v1, v0
	v_addc_co_u32_e32 v1, vcc, 0, v2, vcc
	global_store_byte v[0:1], v12, off
	global_store_byte v[0:1], v13, off offset:64
	global_store_byte v[0:1], v14, off offset:128
	;; [unrolled: 1-line block ×7, first 2 shown]
	s_endpgm
	.section	.rodata,"a",@progbits
	.p2align	6, 0x0
	.amdhsa_kernel _Z6kernelI23blocked_to_warp_stripedaLj256ELj8ELj100EEvPKT0_PKjPS1_
		.amdhsa_group_segment_fixed_size 2112
		.amdhsa_private_segment_fixed_size 0
		.amdhsa_kernarg_size 24
		.amdhsa_user_sgpr_count 6
		.amdhsa_user_sgpr_private_segment_buffer 1
		.amdhsa_user_sgpr_dispatch_ptr 0
		.amdhsa_user_sgpr_queue_ptr 0
		.amdhsa_user_sgpr_kernarg_segment_ptr 1
		.amdhsa_user_sgpr_dispatch_id 0
		.amdhsa_user_sgpr_flat_scratch_init 0
		.amdhsa_user_sgpr_kernarg_preload_length 0
		.amdhsa_user_sgpr_kernarg_preload_offset 0
		.amdhsa_user_sgpr_private_segment_size 0
		.amdhsa_uses_dynamic_stack 0
		.amdhsa_system_sgpr_private_segment_wavefront_offset 0
		.amdhsa_system_sgpr_workgroup_id_x 1
		.amdhsa_system_sgpr_workgroup_id_y 0
		.amdhsa_system_sgpr_workgroup_id_z 0
		.amdhsa_system_sgpr_workgroup_info 0
		.amdhsa_system_vgpr_workitem_id 0
		.amdhsa_next_free_vgpr 22
		.amdhsa_next_free_sgpr 7
		.amdhsa_accum_offset 24
		.amdhsa_reserve_vcc 1
		.amdhsa_reserve_flat_scratch 0
		.amdhsa_float_round_mode_32 0
		.amdhsa_float_round_mode_16_64 0
		.amdhsa_float_denorm_mode_32 3
		.amdhsa_float_denorm_mode_16_64 3
		.amdhsa_dx10_clamp 1
		.amdhsa_ieee_mode 1
		.amdhsa_fp16_overflow 0
		.amdhsa_tg_split 0
		.amdhsa_exception_fp_ieee_invalid_op 0
		.amdhsa_exception_fp_denorm_src 0
		.amdhsa_exception_fp_ieee_div_zero 0
		.amdhsa_exception_fp_ieee_overflow 0
		.amdhsa_exception_fp_ieee_underflow 0
		.amdhsa_exception_fp_ieee_inexact 0
		.amdhsa_exception_int_div_zero 0
	.end_amdhsa_kernel
	.section	.text._Z6kernelI23blocked_to_warp_stripedaLj256ELj8ELj100EEvPKT0_PKjPS1_,"axG",@progbits,_Z6kernelI23blocked_to_warp_stripedaLj256ELj8ELj100EEvPKT0_PKjPS1_,comdat
.Lfunc_end71:
	.size	_Z6kernelI23blocked_to_warp_stripedaLj256ELj8ELj100EEvPKT0_PKjPS1_, .Lfunc_end71-_Z6kernelI23blocked_to_warp_stripedaLj256ELj8ELj100EEvPKT0_PKjPS1_
                                        ; -- End function
	.section	.AMDGPU.csdata,"",@progbits
; Kernel info:
; codeLenInByte = 508
; NumSgprs: 11
; NumVgprs: 22
; NumAgprs: 0
; TotalNumVgprs: 22
; ScratchSize: 0
; MemoryBound: 0
; FloatMode: 240
; IeeeMode: 1
; LDSByteSize: 2112 bytes/workgroup (compile time only)
; SGPRBlocks: 1
; VGPRBlocks: 2
; NumSGPRsForWavesPerEU: 11
; NumVGPRsForWavesPerEU: 22
; AccumOffset: 24
; Occupancy: 8
; WaveLimiterHint : 0
; COMPUTE_PGM_RSRC2:SCRATCH_EN: 0
; COMPUTE_PGM_RSRC2:USER_SGPR: 6
; COMPUTE_PGM_RSRC2:TRAP_HANDLER: 0
; COMPUTE_PGM_RSRC2:TGID_X_EN: 1
; COMPUTE_PGM_RSRC2:TGID_Y_EN: 0
; COMPUTE_PGM_RSRC2:TGID_Z_EN: 0
; COMPUTE_PGM_RSRC2:TIDIG_COMP_CNT: 0
; COMPUTE_PGM_RSRC3_GFX90A:ACCUM_OFFSET: 5
; COMPUTE_PGM_RSRC3_GFX90A:TG_SPLIT: 0
	.section	.text._Z6kernelI23blocked_to_warp_stripedxLj256ELj1ELj100EEvPKT0_PKjPS1_,"axG",@progbits,_Z6kernelI23blocked_to_warp_stripedxLj256ELj1ELj100EEvPKT0_PKjPS1_,comdat
	.protected	_Z6kernelI23blocked_to_warp_stripedxLj256ELj1ELj100EEvPKT0_PKjPS1_ ; -- Begin function _Z6kernelI23blocked_to_warp_stripedxLj256ELj1ELj100EEvPKT0_PKjPS1_
	.globl	_Z6kernelI23blocked_to_warp_stripedxLj256ELj1ELj100EEvPKT0_PKjPS1_
	.p2align	8
	.type	_Z6kernelI23blocked_to_warp_stripedxLj256ELj1ELj100EEvPKT0_PKjPS1_,@function
_Z6kernelI23blocked_to_warp_stripedxLj256ELj1ELj100EEvPKT0_PKjPS1_: ; @_Z6kernelI23blocked_to_warp_stripedxLj256ELj1ELj100EEvPKT0_PKjPS1_
; %bb.0:
	s_load_dwordx2 s[2:3], s[4:5], 0x0
	s_lshl_b32 s0, s6, 8
	s_mov_b32 s1, 0
	s_lshl_b64 s[0:1], s[0:1], 3
	v_lshlrev_b32_e32 v1, 3, v0
	s_waitcnt lgkmcnt(0)
	s_add_u32 s2, s2, s0
	s_addc_u32 s3, s3, s1
	global_load_dwordx2 v[2:3], v1, s[2:3]
	v_mbcnt_lo_u32_b32 v1, -1, 0
	v_and_b32_e32 v0, 0xc0, v0
	v_mbcnt_hi_u32_b32 v1, -1, v1
	v_lshlrev_b32_e32 v0, 3, v0
	v_lshl_add_u32 v4, v1, 3, v0
	s_movk_i32 s2, 0x64
.LBB72_1:                               ; =>This Inner Loop Header: Depth=1
	s_waitcnt vmcnt(0)
	ds_write_b64 v4, v[2:3]
	; wave barrier
	ds_read_b64 v[2:3], v4
	s_add_i32 s2, s2, -1
	s_cmp_lg_u32 s2, 0
	s_waitcnt lgkmcnt(0)
	s_barrier
	s_cbranch_scc1 .LBB72_1
; %bb.2:
	s_load_dwordx2 s[2:3], s[4:5], 0x10
	v_lshlrev_b32_e32 v1, 3, v1
	s_waitcnt lgkmcnt(0)
	s_add_u32 s0, s2, s0
	s_addc_u32 s1, s3, s1
	v_mov_b32_e32 v4, s1
	v_add_co_u32_e32 v1, vcc, s0, v1
	v_addc_co_u32_e32 v4, vcc, 0, v4, vcc
	v_add_co_u32_e32 v0, vcc, v1, v0
	v_addc_co_u32_e32 v1, vcc, 0, v4, vcc
	global_store_dwordx2 v[0:1], v[2:3], off
	s_endpgm
	.section	.rodata,"a",@progbits
	.p2align	6, 0x0
	.amdhsa_kernel _Z6kernelI23blocked_to_warp_stripedxLj256ELj1ELj100EEvPKT0_PKjPS1_
		.amdhsa_group_segment_fixed_size 2048
		.amdhsa_private_segment_fixed_size 0
		.amdhsa_kernarg_size 24
		.amdhsa_user_sgpr_count 6
		.amdhsa_user_sgpr_private_segment_buffer 1
		.amdhsa_user_sgpr_dispatch_ptr 0
		.amdhsa_user_sgpr_queue_ptr 0
		.amdhsa_user_sgpr_kernarg_segment_ptr 1
		.amdhsa_user_sgpr_dispatch_id 0
		.amdhsa_user_sgpr_flat_scratch_init 0
		.amdhsa_user_sgpr_kernarg_preload_length 0
		.amdhsa_user_sgpr_kernarg_preload_offset 0
		.amdhsa_user_sgpr_private_segment_size 0
		.amdhsa_uses_dynamic_stack 0
		.amdhsa_system_sgpr_private_segment_wavefront_offset 0
		.amdhsa_system_sgpr_workgroup_id_x 1
		.amdhsa_system_sgpr_workgroup_id_y 0
		.amdhsa_system_sgpr_workgroup_id_z 0
		.amdhsa_system_sgpr_workgroup_info 0
		.amdhsa_system_vgpr_workitem_id 0
		.amdhsa_next_free_vgpr 5
		.amdhsa_next_free_sgpr 7
		.amdhsa_accum_offset 8
		.amdhsa_reserve_vcc 1
		.amdhsa_reserve_flat_scratch 0
		.amdhsa_float_round_mode_32 0
		.amdhsa_float_round_mode_16_64 0
		.amdhsa_float_denorm_mode_32 3
		.amdhsa_float_denorm_mode_16_64 3
		.amdhsa_dx10_clamp 1
		.amdhsa_ieee_mode 1
		.amdhsa_fp16_overflow 0
		.amdhsa_tg_split 0
		.amdhsa_exception_fp_ieee_invalid_op 0
		.amdhsa_exception_fp_denorm_src 0
		.amdhsa_exception_fp_ieee_div_zero 0
		.amdhsa_exception_fp_ieee_overflow 0
		.amdhsa_exception_fp_ieee_underflow 0
		.amdhsa_exception_fp_ieee_inexact 0
		.amdhsa_exception_int_div_zero 0
	.end_amdhsa_kernel
	.section	.text._Z6kernelI23blocked_to_warp_stripedxLj256ELj1ELj100EEvPKT0_PKjPS1_,"axG",@progbits,_Z6kernelI23blocked_to_warp_stripedxLj256ELj1ELj100EEvPKT0_PKjPS1_,comdat
.Lfunc_end72:
	.size	_Z6kernelI23blocked_to_warp_stripedxLj256ELj1ELj100EEvPKT0_PKjPS1_, .Lfunc_end72-_Z6kernelI23blocked_to_warp_stripedxLj256ELj1ELj100EEvPKT0_PKjPS1_
                                        ; -- End function
	.section	.AMDGPU.csdata,"",@progbits
; Kernel info:
; codeLenInByte = 180
; NumSgprs: 11
; NumVgprs: 5
; NumAgprs: 0
; TotalNumVgprs: 5
; ScratchSize: 0
; MemoryBound: 0
; FloatMode: 240
; IeeeMode: 1
; LDSByteSize: 2048 bytes/workgroup (compile time only)
; SGPRBlocks: 1
; VGPRBlocks: 0
; NumSGPRsForWavesPerEU: 11
; NumVGPRsForWavesPerEU: 5
; AccumOffset: 8
; Occupancy: 8
; WaveLimiterHint : 0
; COMPUTE_PGM_RSRC2:SCRATCH_EN: 0
; COMPUTE_PGM_RSRC2:USER_SGPR: 6
; COMPUTE_PGM_RSRC2:TRAP_HANDLER: 0
; COMPUTE_PGM_RSRC2:TGID_X_EN: 1
; COMPUTE_PGM_RSRC2:TGID_Y_EN: 0
; COMPUTE_PGM_RSRC2:TGID_Z_EN: 0
; COMPUTE_PGM_RSRC2:TIDIG_COMP_CNT: 0
; COMPUTE_PGM_RSRC3_GFX90A:ACCUM_OFFSET: 1
; COMPUTE_PGM_RSRC3_GFX90A:TG_SPLIT: 0
	.section	.text._Z6kernelI23blocked_to_warp_stripedxLj256ELj2ELj100EEvPKT0_PKjPS1_,"axG",@progbits,_Z6kernelI23blocked_to_warp_stripedxLj256ELj2ELj100EEvPKT0_PKjPS1_,comdat
	.protected	_Z6kernelI23blocked_to_warp_stripedxLj256ELj2ELj100EEvPKT0_PKjPS1_ ; -- Begin function _Z6kernelI23blocked_to_warp_stripedxLj256ELj2ELj100EEvPKT0_PKjPS1_
	.globl	_Z6kernelI23blocked_to_warp_stripedxLj256ELj2ELj100EEvPKT0_PKjPS1_
	.p2align	8
	.type	_Z6kernelI23blocked_to_warp_stripedxLj256ELj2ELj100EEvPKT0_PKjPS1_,@function
_Z6kernelI23blocked_to_warp_stripedxLj256ELj2ELj100EEvPKT0_PKjPS1_: ; @_Z6kernelI23blocked_to_warp_stripedxLj256ELj2ELj100EEvPKT0_PKjPS1_
; %bb.0:
	s_load_dwordx2 s[2:3], s[4:5], 0x0
	s_lshl_b32 s0, s6, 9
	s_mov_b32 s1, 0
	s_lshl_b64 s[0:1], s[0:1], 3
	v_lshlrev_b32_e32 v1, 4, v0
	s_waitcnt lgkmcnt(0)
	s_add_u32 s2, s2, s0
	s_addc_u32 s3, s3, s1
	global_load_dwordx4 v[2:5], v1, s[2:3]
	v_mbcnt_lo_u32_b32 v1, -1, 0
	v_lshlrev_b32_e32 v7, 1, v0
	v_mbcnt_hi_u32_b32 v1, -1, v1
	v_and_b32_e32 v0, 0xc0, v0
	v_add_u32_e32 v6, v1, v0
	v_add_u16_e32 v0, v1, v0
	v_lshrrev_b16_e32 v0, 1, v0
	v_and_b32_e32 v0, 0xf8, v0
	v_lshl_add_u32 v6, v6, 4, v0
	v_and_b32_e32 v0, 0x180, v7
	v_or_b32_e32 v8, v1, v0
	v_add_u32_e32 v9, 64, v8
	v_lshrrev_b32_e32 v7, 5, v8
	v_lshrrev_b32_e32 v9, 5, v9
	v_add_lshl_u32 v7, v7, v8, 3
	v_add_lshl_u32 v8, v9, v8, 3
	s_movk_i32 s2, 0x64
.LBB73_1:                               ; =>This Inner Loop Header: Depth=1
	s_waitcnt vmcnt(0)
	ds_write2_b64 v6, v[2:3], v[4:5] offset1:1
	; wave barrier
	ds_read_b64 v[2:3], v7
	ds_read_b64 v[4:5], v8 offset:512
	s_add_i32 s2, s2, -1
	s_cmp_lg_u32 s2, 0
	s_waitcnt lgkmcnt(0)
	s_barrier
	s_cbranch_scc1 .LBB73_1
; %bb.2:
	s_load_dwordx2 s[2:3], s[4:5], 0x10
	v_lshlrev_b32_e32 v1, 3, v1
	v_lshlrev_b32_e32 v0, 3, v0
	s_waitcnt lgkmcnt(0)
	s_add_u32 s0, s2, s0
	s_addc_u32 s1, s3, s1
	v_mov_b32_e32 v6, s1
	v_add_co_u32_e32 v1, vcc, s0, v1
	v_addc_co_u32_e32 v6, vcc, 0, v6, vcc
	v_add_co_u32_e32 v0, vcc, v1, v0
	v_addc_co_u32_e32 v1, vcc, 0, v6, vcc
	global_store_dwordx2 v[0:1], v[2:3], off
	global_store_dwordx2 v[0:1], v[4:5], off offset:512
	s_endpgm
	.section	.rodata,"a",@progbits
	.p2align	6, 0x0
	.amdhsa_kernel _Z6kernelI23blocked_to_warp_stripedxLj256ELj2ELj100EEvPKT0_PKjPS1_
		.amdhsa_group_segment_fixed_size 4224
		.amdhsa_private_segment_fixed_size 0
		.amdhsa_kernarg_size 24
		.amdhsa_user_sgpr_count 6
		.amdhsa_user_sgpr_private_segment_buffer 1
		.amdhsa_user_sgpr_dispatch_ptr 0
		.amdhsa_user_sgpr_queue_ptr 0
		.amdhsa_user_sgpr_kernarg_segment_ptr 1
		.amdhsa_user_sgpr_dispatch_id 0
		.amdhsa_user_sgpr_flat_scratch_init 0
		.amdhsa_user_sgpr_kernarg_preload_length 0
		.amdhsa_user_sgpr_kernarg_preload_offset 0
		.amdhsa_user_sgpr_private_segment_size 0
		.amdhsa_uses_dynamic_stack 0
		.amdhsa_system_sgpr_private_segment_wavefront_offset 0
		.amdhsa_system_sgpr_workgroup_id_x 1
		.amdhsa_system_sgpr_workgroup_id_y 0
		.amdhsa_system_sgpr_workgroup_id_z 0
		.amdhsa_system_sgpr_workgroup_info 0
		.amdhsa_system_vgpr_workitem_id 0
		.amdhsa_next_free_vgpr 10
		.amdhsa_next_free_sgpr 7
		.amdhsa_accum_offset 12
		.amdhsa_reserve_vcc 1
		.amdhsa_reserve_flat_scratch 0
		.amdhsa_float_round_mode_32 0
		.amdhsa_float_round_mode_16_64 0
		.amdhsa_float_denorm_mode_32 3
		.amdhsa_float_denorm_mode_16_64 3
		.amdhsa_dx10_clamp 1
		.amdhsa_ieee_mode 1
		.amdhsa_fp16_overflow 0
		.amdhsa_tg_split 0
		.amdhsa_exception_fp_ieee_invalid_op 0
		.amdhsa_exception_fp_denorm_src 0
		.amdhsa_exception_fp_ieee_div_zero 0
		.amdhsa_exception_fp_ieee_overflow 0
		.amdhsa_exception_fp_ieee_underflow 0
		.amdhsa_exception_fp_ieee_inexact 0
		.amdhsa_exception_int_div_zero 0
	.end_amdhsa_kernel
	.section	.text._Z6kernelI23blocked_to_warp_stripedxLj256ELj2ELj100EEvPKT0_PKjPS1_,"axG",@progbits,_Z6kernelI23blocked_to_warp_stripedxLj256ELj2ELj100EEvPKT0_PKjPS1_,comdat
.Lfunc_end73:
	.size	_Z6kernelI23blocked_to_warp_stripedxLj256ELj2ELj100EEvPKT0_PKjPS1_, .Lfunc_end73-_Z6kernelI23blocked_to_warp_stripedxLj256ELj2ELj100EEvPKT0_PKjPS1_
                                        ; -- End function
	.section	.AMDGPU.csdata,"",@progbits
; Kernel info:
; codeLenInByte = 260
; NumSgprs: 11
; NumVgprs: 10
; NumAgprs: 0
; TotalNumVgprs: 10
; ScratchSize: 0
; MemoryBound: 0
; FloatMode: 240
; IeeeMode: 1
; LDSByteSize: 4224 bytes/workgroup (compile time only)
; SGPRBlocks: 1
; VGPRBlocks: 1
; NumSGPRsForWavesPerEU: 11
; NumVGPRsForWavesPerEU: 10
; AccumOffset: 12
; Occupancy: 8
; WaveLimiterHint : 1
; COMPUTE_PGM_RSRC2:SCRATCH_EN: 0
; COMPUTE_PGM_RSRC2:USER_SGPR: 6
; COMPUTE_PGM_RSRC2:TRAP_HANDLER: 0
; COMPUTE_PGM_RSRC2:TGID_X_EN: 1
; COMPUTE_PGM_RSRC2:TGID_Y_EN: 0
; COMPUTE_PGM_RSRC2:TGID_Z_EN: 0
; COMPUTE_PGM_RSRC2:TIDIG_COMP_CNT: 0
; COMPUTE_PGM_RSRC3_GFX90A:ACCUM_OFFSET: 2
; COMPUTE_PGM_RSRC3_GFX90A:TG_SPLIT: 0
	.section	.text._Z6kernelI23blocked_to_warp_stripedxLj256ELj3ELj100EEvPKT0_PKjPS1_,"axG",@progbits,_Z6kernelI23blocked_to_warp_stripedxLj256ELj3ELj100EEvPKT0_PKjPS1_,comdat
	.protected	_Z6kernelI23blocked_to_warp_stripedxLj256ELj3ELj100EEvPKT0_PKjPS1_ ; -- Begin function _Z6kernelI23blocked_to_warp_stripedxLj256ELj3ELj100EEvPKT0_PKjPS1_
	.globl	_Z6kernelI23blocked_to_warp_stripedxLj256ELj3ELj100EEvPKT0_PKjPS1_
	.p2align	8
	.type	_Z6kernelI23blocked_to_warp_stripedxLj256ELj3ELj100EEvPKT0_PKjPS1_,@function
_Z6kernelI23blocked_to_warp_stripedxLj256ELj3ELj100EEvPKT0_PKjPS1_: ; @_Z6kernelI23blocked_to_warp_stripedxLj256ELj3ELj100EEvPKT0_PKjPS1_
; %bb.0:
	s_load_dwordx2 s[2:3], s[4:5], 0x0
	s_mul_i32 s0, s6, 0x300
	s_mov_b32 s1, 0
	s_lshl_b64 s[0:1], s[0:1], 3
	v_mul_u32_u24_e32 v1, 3, v0
	s_waitcnt lgkmcnt(0)
	s_add_u32 s2, s2, s0
	s_addc_u32 s3, s3, s1
	v_lshlrev_b32_e32 v1, 3, v1
	global_load_dwordx2 v[6:7], v1, s[2:3] offset:16
	global_load_dwordx4 v[2:5], v1, s[2:3]
	v_lshrrev_b32_e32 v8, 6, v0
	v_mbcnt_lo_u32_b32 v1, -1, 0
	v_mul_u32_u24_e32 v9, 0xc0, v8
	v_mbcnt_hi_u32_b32 v1, -1, v1
	v_lshlrev_b32_e32 v8, 3, v9
	v_mad_u32_u24 v8, v1, 24, v8
	v_add_lshl_u32 v9, v1, v9, 3
	s_movk_i32 s2, 0x64
.LBB74_1:                               ; =>This Inner Loop Header: Depth=1
	s_waitcnt vmcnt(0)
	ds_write2_b64 v8, v[2:3], v[4:5] offset1:1
	ds_write_b64 v8, v[6:7] offset:16
	; wave barrier
	ds_read2st64_b64 v[2:5], v9 offset1:1
	ds_read_b64 v[6:7], v9 offset:1024
	s_add_i32 s2, s2, -1
	s_cmp_lg_u32 s2, 0
	s_waitcnt lgkmcnt(0)
	s_barrier
	s_cbranch_scc1 .LBB74_1
; %bb.2:
	s_load_dwordx2 s[2:3], s[4:5], 0x10
	v_and_b32_e32 v0, 0xc0, v0
	v_lshlrev_b32_e32 v1, 3, v1
	v_mul_u32_u24_e32 v0, 3, v0
	v_lshlrev_b32_e32 v0, 3, v0
	s_waitcnt lgkmcnt(0)
	s_add_u32 s0, s2, s0
	s_addc_u32 s1, s3, s1
	v_mov_b32_e32 v8, s1
	v_add_co_u32_e32 v1, vcc, s0, v1
	v_addc_co_u32_e32 v8, vcc, 0, v8, vcc
	v_add_co_u32_e32 v0, vcc, v1, v0
	v_addc_co_u32_e32 v1, vcc, 0, v8, vcc
	global_store_dwordx2 v[0:1], v[2:3], off
	global_store_dwordx2 v[0:1], v[4:5], off offset:512
	global_store_dwordx2 v[0:1], v[6:7], off offset:1024
	s_endpgm
	.section	.rodata,"a",@progbits
	.p2align	6, 0x0
	.amdhsa_kernel _Z6kernelI23blocked_to_warp_stripedxLj256ELj3ELj100EEvPKT0_PKjPS1_
		.amdhsa_group_segment_fixed_size 6144
		.amdhsa_private_segment_fixed_size 0
		.amdhsa_kernarg_size 24
		.amdhsa_user_sgpr_count 6
		.amdhsa_user_sgpr_private_segment_buffer 1
		.amdhsa_user_sgpr_dispatch_ptr 0
		.amdhsa_user_sgpr_queue_ptr 0
		.amdhsa_user_sgpr_kernarg_segment_ptr 1
		.amdhsa_user_sgpr_dispatch_id 0
		.amdhsa_user_sgpr_flat_scratch_init 0
		.amdhsa_user_sgpr_kernarg_preload_length 0
		.amdhsa_user_sgpr_kernarg_preload_offset 0
		.amdhsa_user_sgpr_private_segment_size 0
		.amdhsa_uses_dynamic_stack 0
		.amdhsa_system_sgpr_private_segment_wavefront_offset 0
		.amdhsa_system_sgpr_workgroup_id_x 1
		.amdhsa_system_sgpr_workgroup_id_y 0
		.amdhsa_system_sgpr_workgroup_id_z 0
		.amdhsa_system_sgpr_workgroup_info 0
		.amdhsa_system_vgpr_workitem_id 0
		.amdhsa_next_free_vgpr 10
		.amdhsa_next_free_sgpr 7
		.amdhsa_accum_offset 12
		.amdhsa_reserve_vcc 1
		.amdhsa_reserve_flat_scratch 0
		.amdhsa_float_round_mode_32 0
		.amdhsa_float_round_mode_16_64 0
		.amdhsa_float_denorm_mode_32 3
		.amdhsa_float_denorm_mode_16_64 3
		.amdhsa_dx10_clamp 1
		.amdhsa_ieee_mode 1
		.amdhsa_fp16_overflow 0
		.amdhsa_tg_split 0
		.amdhsa_exception_fp_ieee_invalid_op 0
		.amdhsa_exception_fp_denorm_src 0
		.amdhsa_exception_fp_ieee_div_zero 0
		.amdhsa_exception_fp_ieee_overflow 0
		.amdhsa_exception_fp_ieee_underflow 0
		.amdhsa_exception_fp_ieee_inexact 0
		.amdhsa_exception_int_div_zero 0
	.end_amdhsa_kernel
	.section	.text._Z6kernelI23blocked_to_warp_stripedxLj256ELj3ELj100EEvPKT0_PKjPS1_,"axG",@progbits,_Z6kernelI23blocked_to_warp_stripedxLj256ELj3ELj100EEvPKT0_PKjPS1_,comdat
.Lfunc_end74:
	.size	_Z6kernelI23blocked_to_warp_stripedxLj256ELj3ELj100EEvPKT0_PKjPS1_, .Lfunc_end74-_Z6kernelI23blocked_to_warp_stripedxLj256ELj3ELj100EEvPKT0_PKjPS1_
                                        ; -- End function
	.section	.AMDGPU.csdata,"",@progbits
; Kernel info:
; codeLenInByte = 256
; NumSgprs: 11
; NumVgprs: 10
; NumAgprs: 0
; TotalNumVgprs: 10
; ScratchSize: 0
; MemoryBound: 0
; FloatMode: 240
; IeeeMode: 1
; LDSByteSize: 6144 bytes/workgroup (compile time only)
; SGPRBlocks: 1
; VGPRBlocks: 1
; NumSGPRsForWavesPerEU: 11
; NumVGPRsForWavesPerEU: 10
; AccumOffset: 12
; Occupancy: 8
; WaveLimiterHint : 1
; COMPUTE_PGM_RSRC2:SCRATCH_EN: 0
; COMPUTE_PGM_RSRC2:USER_SGPR: 6
; COMPUTE_PGM_RSRC2:TRAP_HANDLER: 0
; COMPUTE_PGM_RSRC2:TGID_X_EN: 1
; COMPUTE_PGM_RSRC2:TGID_Y_EN: 0
; COMPUTE_PGM_RSRC2:TGID_Z_EN: 0
; COMPUTE_PGM_RSRC2:TIDIG_COMP_CNT: 0
; COMPUTE_PGM_RSRC3_GFX90A:ACCUM_OFFSET: 2
; COMPUTE_PGM_RSRC3_GFX90A:TG_SPLIT: 0
	.section	.text._Z6kernelI23blocked_to_warp_stripedxLj256ELj4ELj100EEvPKT0_PKjPS1_,"axG",@progbits,_Z6kernelI23blocked_to_warp_stripedxLj256ELj4ELj100EEvPKT0_PKjPS1_,comdat
	.protected	_Z6kernelI23blocked_to_warp_stripedxLj256ELj4ELj100EEvPKT0_PKjPS1_ ; -- Begin function _Z6kernelI23blocked_to_warp_stripedxLj256ELj4ELj100EEvPKT0_PKjPS1_
	.globl	_Z6kernelI23blocked_to_warp_stripedxLj256ELj4ELj100EEvPKT0_PKjPS1_
	.p2align	8
	.type	_Z6kernelI23blocked_to_warp_stripedxLj256ELj4ELj100EEvPKT0_PKjPS1_,@function
_Z6kernelI23blocked_to_warp_stripedxLj256ELj4ELj100EEvPKT0_PKjPS1_: ; @_Z6kernelI23blocked_to_warp_stripedxLj256ELj4ELj100EEvPKT0_PKjPS1_
; %bb.0:
	s_load_dwordx2 s[2:3], s[4:5], 0x0
	s_lshl_b32 s0, s6, 10
	s_mov_b32 s1, 0
	s_lshl_b64 s[0:1], s[0:1], 3
	v_lshlrev_b32_e32 v1, 5, v0
	s_waitcnt lgkmcnt(0)
	s_add_u32 s2, s2, s0
	s_addc_u32 s3, s3, s1
	global_load_dwordx4 v[2:5], v1, s[2:3] offset:16
	global_load_dwordx4 v[6:9], v1, s[2:3]
	v_mbcnt_lo_u32_b32 v1, -1, 0
	v_lshlrev_b32_e32 v11, 2, v0
	v_mbcnt_hi_u32_b32 v1, -1, v1
	v_and_b32_e32 v0, 0xc0, v0
	v_add_u32_e32 v0, v1, v0
	v_and_b32_e32 v10, 0x1f8, v0
	v_lshl_add_u32 v10, v0, 5, v10
	v_and_b32_e32 v0, 0x300, v11
	v_or_b32_e32 v14, v1, v0
	v_add_u32_e32 v12, 64, v14
	v_or_b32_e32 v13, 0x80, v14
	v_add_u32_e32 v15, 0xc0, v14
	v_lshrrev_b32_e32 v11, 5, v14
	v_lshrrev_b32_e32 v12, 5, v12
	;; [unrolled: 1-line block ×4, first 2 shown]
	v_add_lshl_u32 v11, v11, v14, 3
	v_add_lshl_u32 v12, v12, v14, 3
	;; [unrolled: 1-line block ×4, first 2 shown]
	s_movk_i32 s2, 0x64
.LBB75_1:                               ; =>This Inner Loop Header: Depth=1
	s_waitcnt vmcnt(0)
	ds_write2_b64 v10, v[6:7], v[8:9] offset1:1
	ds_write2_b64 v10, v[2:3], v[4:5] offset0:2 offset1:3
	; wave barrier
	ds_read_b64 v[6:7], v11
	ds_read_b64 v[8:9], v12 offset:512
	ds_read_b64 v[2:3], v13 offset:1024
	;; [unrolled: 1-line block ×3, first 2 shown]
	s_add_i32 s2, s2, -1
	s_cmp_lg_u32 s2, 0
	s_waitcnt lgkmcnt(0)
	s_barrier
	s_cbranch_scc1 .LBB75_1
; %bb.2:
	s_load_dwordx2 s[2:3], s[4:5], 0x10
	v_lshlrev_b32_e32 v1, 3, v1
	v_lshlrev_b32_e32 v0, 3, v0
	s_waitcnt lgkmcnt(0)
	s_add_u32 s0, s2, s0
	s_addc_u32 s1, s3, s1
	v_mov_b32_e32 v10, s1
	v_add_co_u32_e32 v1, vcc, s0, v1
	v_addc_co_u32_e32 v10, vcc, 0, v10, vcc
	v_add_co_u32_e32 v0, vcc, v1, v0
	v_addc_co_u32_e32 v1, vcc, 0, v10, vcc
	global_store_dwordx2 v[0:1], v[6:7], off
	global_store_dwordx2 v[0:1], v[8:9], off offset:512
	global_store_dwordx2 v[0:1], v[2:3], off offset:1024
	;; [unrolled: 1-line block ×3, first 2 shown]
	s_endpgm
	.section	.rodata,"a",@progbits
	.p2align	6, 0x0
	.amdhsa_kernel _Z6kernelI23blocked_to_warp_stripedxLj256ELj4ELj100EEvPKT0_PKjPS1_
		.amdhsa_group_segment_fixed_size 8448
		.amdhsa_private_segment_fixed_size 0
		.amdhsa_kernarg_size 24
		.amdhsa_user_sgpr_count 6
		.amdhsa_user_sgpr_private_segment_buffer 1
		.amdhsa_user_sgpr_dispatch_ptr 0
		.amdhsa_user_sgpr_queue_ptr 0
		.amdhsa_user_sgpr_kernarg_segment_ptr 1
		.amdhsa_user_sgpr_dispatch_id 0
		.amdhsa_user_sgpr_flat_scratch_init 0
		.amdhsa_user_sgpr_kernarg_preload_length 0
		.amdhsa_user_sgpr_kernarg_preload_offset 0
		.amdhsa_user_sgpr_private_segment_size 0
		.amdhsa_uses_dynamic_stack 0
		.amdhsa_system_sgpr_private_segment_wavefront_offset 0
		.amdhsa_system_sgpr_workgroup_id_x 1
		.amdhsa_system_sgpr_workgroup_id_y 0
		.amdhsa_system_sgpr_workgroup_id_z 0
		.amdhsa_system_sgpr_workgroup_info 0
		.amdhsa_system_vgpr_workitem_id 0
		.amdhsa_next_free_vgpr 16
		.amdhsa_next_free_sgpr 7
		.amdhsa_accum_offset 16
		.amdhsa_reserve_vcc 1
		.amdhsa_reserve_flat_scratch 0
		.amdhsa_float_round_mode_32 0
		.amdhsa_float_round_mode_16_64 0
		.amdhsa_float_denorm_mode_32 3
		.amdhsa_float_denorm_mode_16_64 3
		.amdhsa_dx10_clamp 1
		.amdhsa_ieee_mode 1
		.amdhsa_fp16_overflow 0
		.amdhsa_tg_split 0
		.amdhsa_exception_fp_ieee_invalid_op 0
		.amdhsa_exception_fp_denorm_src 0
		.amdhsa_exception_fp_ieee_div_zero 0
		.amdhsa_exception_fp_ieee_overflow 0
		.amdhsa_exception_fp_ieee_underflow 0
		.amdhsa_exception_fp_ieee_inexact 0
		.amdhsa_exception_int_div_zero 0
	.end_amdhsa_kernel
	.section	.text._Z6kernelI23blocked_to_warp_stripedxLj256ELj4ELj100EEvPKT0_PKjPS1_,"axG",@progbits,_Z6kernelI23blocked_to_warp_stripedxLj256ELj4ELj100EEvPKT0_PKjPS1_,comdat
.Lfunc_end75:
	.size	_Z6kernelI23blocked_to_warp_stripedxLj256ELj4ELj100EEvPKT0_PKjPS1_, .Lfunc_end75-_Z6kernelI23blocked_to_warp_stripedxLj256ELj4ELj100EEvPKT0_PKjPS1_
                                        ; -- End function
	.section	.AMDGPU.csdata,"",@progbits
; Kernel info:
; codeLenInByte = 340
; NumSgprs: 11
; NumVgprs: 16
; NumAgprs: 0
; TotalNumVgprs: 16
; ScratchSize: 0
; MemoryBound: 0
; FloatMode: 240
; IeeeMode: 1
; LDSByteSize: 8448 bytes/workgroup (compile time only)
; SGPRBlocks: 1
; VGPRBlocks: 1
; NumSGPRsForWavesPerEU: 11
; NumVGPRsForWavesPerEU: 16
; AccumOffset: 16
; Occupancy: 7
; WaveLimiterHint : 1
; COMPUTE_PGM_RSRC2:SCRATCH_EN: 0
; COMPUTE_PGM_RSRC2:USER_SGPR: 6
; COMPUTE_PGM_RSRC2:TRAP_HANDLER: 0
; COMPUTE_PGM_RSRC2:TGID_X_EN: 1
; COMPUTE_PGM_RSRC2:TGID_Y_EN: 0
; COMPUTE_PGM_RSRC2:TGID_Z_EN: 0
; COMPUTE_PGM_RSRC2:TIDIG_COMP_CNT: 0
; COMPUTE_PGM_RSRC3_GFX90A:ACCUM_OFFSET: 3
; COMPUTE_PGM_RSRC3_GFX90A:TG_SPLIT: 0
	.section	.text._Z6kernelI23blocked_to_warp_stripedxLj256ELj7ELj100EEvPKT0_PKjPS1_,"axG",@progbits,_Z6kernelI23blocked_to_warp_stripedxLj256ELj7ELj100EEvPKT0_PKjPS1_,comdat
	.protected	_Z6kernelI23blocked_to_warp_stripedxLj256ELj7ELj100EEvPKT0_PKjPS1_ ; -- Begin function _Z6kernelI23blocked_to_warp_stripedxLj256ELj7ELj100EEvPKT0_PKjPS1_
	.globl	_Z6kernelI23blocked_to_warp_stripedxLj256ELj7ELj100EEvPKT0_PKjPS1_
	.p2align	8
	.type	_Z6kernelI23blocked_to_warp_stripedxLj256ELj7ELj100EEvPKT0_PKjPS1_,@function
_Z6kernelI23blocked_to_warp_stripedxLj256ELj7ELj100EEvPKT0_PKjPS1_: ; @_Z6kernelI23blocked_to_warp_stripedxLj256ELj7ELj100EEvPKT0_PKjPS1_
; %bb.0:
	s_load_dwordx2 s[2:3], s[4:5], 0x0
	s_mul_i32 s0, s6, 0x700
	s_mov_b32 s1, 0
	s_lshl_b64 s[0:1], s[0:1], 3
	v_mul_u32_u24_e32 v1, 7, v0
	s_waitcnt lgkmcnt(0)
	s_add_u32 s2, s2, s0
	s_addc_u32 s3, s3, s1
	v_lshlrev_b32_e32 v1, 3, v1
	global_load_dwordx2 v[14:15], v1, s[2:3] offset:48
	global_load_dwordx4 v[2:5], v1, s[2:3] offset:32
	global_load_dwordx4 v[6:9], v1, s[2:3] offset:16
	global_load_dwordx4 v[10:13], v1, s[2:3]
	v_lshrrev_b32_e32 v16, 6, v0
	v_mbcnt_lo_u32_b32 v1, -1, 0
	v_mul_u32_u24_e32 v17, 0x1c0, v16
	v_mbcnt_hi_u32_b32 v1, -1, v1
	v_lshlrev_b32_e32 v16, 3, v17
	v_mad_u32_u24 v16, v1, 56, v16
	v_add_lshl_u32 v17, v1, v17, 3
	s_movk_i32 s2, 0x64
.LBB76_1:                               ; =>This Inner Loop Header: Depth=1
	s_waitcnt vmcnt(0)
	ds_write2_b64 v16, v[10:11], v[12:13] offset1:1
	ds_write2_b64 v16, v[6:7], v[8:9] offset0:2 offset1:3
	ds_write2_b64 v16, v[2:3], v[4:5] offset0:4 offset1:5
	ds_write_b64 v16, v[14:15] offset:48
	; wave barrier
	ds_read2st64_b64 v[10:13], v17 offset1:1
	ds_read2st64_b64 v[6:9], v17 offset0:2 offset1:3
	ds_read2st64_b64 v[2:5], v17 offset0:4 offset1:5
	ds_read_b64 v[14:15], v17 offset:3072
	s_add_i32 s2, s2, -1
	s_cmp_lg_u32 s2, 0
	s_waitcnt lgkmcnt(0)
	s_barrier
	s_cbranch_scc1 .LBB76_1
; %bb.2:
	s_load_dwordx2 s[2:3], s[4:5], 0x10
	v_and_b32_e32 v0, 0xc0, v0
	v_lshlrev_b32_e32 v1, 3, v1
	v_mul_u32_u24_e32 v0, 7, v0
	v_lshlrev_b32_e32 v0, 3, v0
	s_waitcnt lgkmcnt(0)
	s_add_u32 s0, s2, s0
	s_addc_u32 s1, s3, s1
	v_mov_b32_e32 v16, s1
	v_add_co_u32_e32 v1, vcc, s0, v1
	v_addc_co_u32_e32 v16, vcc, 0, v16, vcc
	v_add_co_u32_e32 v0, vcc, v1, v0
	v_addc_co_u32_e32 v1, vcc, 0, v16, vcc
	global_store_dwordx2 v[0:1], v[10:11], off
	global_store_dwordx2 v[0:1], v[12:13], off offset:512
	global_store_dwordx2 v[0:1], v[6:7], off offset:1024
	global_store_dwordx2 v[0:1], v[8:9], off offset:1536
	global_store_dwordx2 v[0:1], v[2:3], off offset:2048
	global_store_dwordx2 v[0:1], v[4:5], off offset:2560
	global_store_dwordx2 v[0:1], v[14:15], off offset:3072
	s_endpgm
	.section	.rodata,"a",@progbits
	.p2align	6, 0x0
	.amdhsa_kernel _Z6kernelI23blocked_to_warp_stripedxLj256ELj7ELj100EEvPKT0_PKjPS1_
		.amdhsa_group_segment_fixed_size 14336
		.amdhsa_private_segment_fixed_size 0
		.amdhsa_kernarg_size 24
		.amdhsa_user_sgpr_count 6
		.amdhsa_user_sgpr_private_segment_buffer 1
		.amdhsa_user_sgpr_dispatch_ptr 0
		.amdhsa_user_sgpr_queue_ptr 0
		.amdhsa_user_sgpr_kernarg_segment_ptr 1
		.amdhsa_user_sgpr_dispatch_id 0
		.amdhsa_user_sgpr_flat_scratch_init 0
		.amdhsa_user_sgpr_kernarg_preload_length 0
		.amdhsa_user_sgpr_kernarg_preload_offset 0
		.amdhsa_user_sgpr_private_segment_size 0
		.amdhsa_uses_dynamic_stack 0
		.amdhsa_system_sgpr_private_segment_wavefront_offset 0
		.amdhsa_system_sgpr_workgroup_id_x 1
		.amdhsa_system_sgpr_workgroup_id_y 0
		.amdhsa_system_sgpr_workgroup_id_z 0
		.amdhsa_system_sgpr_workgroup_info 0
		.amdhsa_system_vgpr_workitem_id 0
		.amdhsa_next_free_vgpr 18
		.amdhsa_next_free_sgpr 7
		.amdhsa_accum_offset 20
		.amdhsa_reserve_vcc 1
		.amdhsa_reserve_flat_scratch 0
		.amdhsa_float_round_mode_32 0
		.amdhsa_float_round_mode_16_64 0
		.amdhsa_float_denorm_mode_32 3
		.amdhsa_float_denorm_mode_16_64 3
		.amdhsa_dx10_clamp 1
		.amdhsa_ieee_mode 1
		.amdhsa_fp16_overflow 0
		.amdhsa_tg_split 0
		.amdhsa_exception_fp_ieee_invalid_op 0
		.amdhsa_exception_fp_denorm_src 0
		.amdhsa_exception_fp_ieee_div_zero 0
		.amdhsa_exception_fp_ieee_overflow 0
		.amdhsa_exception_fp_ieee_underflow 0
		.amdhsa_exception_fp_ieee_inexact 0
		.amdhsa_exception_int_div_zero 0
	.end_amdhsa_kernel
	.section	.text._Z6kernelI23blocked_to_warp_stripedxLj256ELj7ELj100EEvPKT0_PKjPS1_,"axG",@progbits,_Z6kernelI23blocked_to_warp_stripedxLj256ELj7ELj100EEvPKT0_PKjPS1_,comdat
.Lfunc_end76:
	.size	_Z6kernelI23blocked_to_warp_stripedxLj256ELj7ELj100EEvPKT0_PKjPS1_, .Lfunc_end76-_Z6kernelI23blocked_to_warp_stripedxLj256ELj7ELj100EEvPKT0_PKjPS1_
                                        ; -- End function
	.section	.AMDGPU.csdata,"",@progbits
; Kernel info:
; codeLenInByte = 336
; NumSgprs: 11
; NumVgprs: 18
; NumAgprs: 0
; TotalNumVgprs: 18
; ScratchSize: 0
; MemoryBound: 0
; FloatMode: 240
; IeeeMode: 1
; LDSByteSize: 14336 bytes/workgroup (compile time only)
; SGPRBlocks: 1
; VGPRBlocks: 2
; NumSGPRsForWavesPerEU: 11
; NumVGPRsForWavesPerEU: 18
; AccumOffset: 20
; Occupancy: 4
; WaveLimiterHint : 1
; COMPUTE_PGM_RSRC2:SCRATCH_EN: 0
; COMPUTE_PGM_RSRC2:USER_SGPR: 6
; COMPUTE_PGM_RSRC2:TRAP_HANDLER: 0
; COMPUTE_PGM_RSRC2:TGID_X_EN: 1
; COMPUTE_PGM_RSRC2:TGID_Y_EN: 0
; COMPUTE_PGM_RSRC2:TGID_Z_EN: 0
; COMPUTE_PGM_RSRC2:TIDIG_COMP_CNT: 0
; COMPUTE_PGM_RSRC3_GFX90A:ACCUM_OFFSET: 4
; COMPUTE_PGM_RSRC3_GFX90A:TG_SPLIT: 0
	.section	.text._Z6kernelI23blocked_to_warp_stripedxLj256ELj8ELj100EEvPKT0_PKjPS1_,"axG",@progbits,_Z6kernelI23blocked_to_warp_stripedxLj256ELj8ELj100EEvPKT0_PKjPS1_,comdat
	.protected	_Z6kernelI23blocked_to_warp_stripedxLj256ELj8ELj100EEvPKT0_PKjPS1_ ; -- Begin function _Z6kernelI23blocked_to_warp_stripedxLj256ELj8ELj100EEvPKT0_PKjPS1_
	.globl	_Z6kernelI23blocked_to_warp_stripedxLj256ELj8ELj100EEvPKT0_PKjPS1_
	.p2align	8
	.type	_Z6kernelI23blocked_to_warp_stripedxLj256ELj8ELj100EEvPKT0_PKjPS1_,@function
_Z6kernelI23blocked_to_warp_stripedxLj256ELj8ELj100EEvPKT0_PKjPS1_: ; @_Z6kernelI23blocked_to_warp_stripedxLj256ELj8ELj100EEvPKT0_PKjPS1_
; %bb.0:
	s_load_dwordx2 s[2:3], s[4:5], 0x0
	s_lshl_b32 s0, s6, 11
	s_mov_b32 s1, 0
	s_lshl_b64 s[0:1], s[0:1], 3
	v_lshlrev_b32_e32 v1, 6, v0
	s_waitcnt lgkmcnt(0)
	s_add_u32 s2, s2, s0
	s_addc_u32 s3, s3, s1
	global_load_dwordx4 v[2:5], v1, s[2:3] offset:48
	global_load_dwordx4 v[6:9], v1, s[2:3] offset:32
	;; [unrolled: 1-line block ×3, first 2 shown]
	global_load_dwordx4 v[14:17], v1, s[2:3]
	v_mbcnt_lo_u32_b32 v1, -1, 0
	v_lshlrev_b32_e32 v19, 3, v0
	v_mbcnt_hi_u32_b32 v1, -1, v1
	v_and_b32_e32 v0, 0xc0, v0
	v_add_u32_e32 v0, v1, v0
	v_lshlrev_b32_e32 v18, 1, v0
	v_and_b32_e32 v18, 0x3f8, v18
	v_lshl_add_u32 v18, v0, 6, v18
	v_and_b32_e32 v0, 0x600, v19
	v_or_b32_e32 v26, v1, v0
	v_add_u32_e32 v20, 64, v26
	v_or_b32_e32 v21, 0x80, v26
	v_add_u32_e32 v22, 0xc0, v26
	;; [unrolled: 2-line block ×4, first 2 shown]
	v_lshrrev_b32_e32 v19, 5, v26
	v_lshrrev_b32_e32 v20, 5, v20
	;; [unrolled: 1-line block ×8, first 2 shown]
	v_add_lshl_u32 v19, v19, v26, 3
	v_add_lshl_u32 v20, v20, v26, 3
	;; [unrolled: 1-line block ×8, first 2 shown]
	s_movk_i32 s2, 0x64
.LBB77_1:                               ; =>This Inner Loop Header: Depth=1
	s_waitcnt vmcnt(0)
	ds_write2_b64 v18, v[14:15], v[16:17] offset1:1
	ds_write2_b64 v18, v[10:11], v[12:13] offset0:2 offset1:3
	ds_write2_b64 v18, v[6:7], v[8:9] offset0:4 offset1:5
	ds_write2_b64 v18, v[2:3], v[4:5] offset0:6 offset1:7
	; wave barrier
	ds_read_b64 v[14:15], v19
	ds_read_b64 v[16:17], v20 offset:512
	ds_read_b64 v[10:11], v21 offset:1024
	;; [unrolled: 1-line block ×7, first 2 shown]
	s_add_i32 s2, s2, -1
	s_cmp_lg_u32 s2, 0
	s_waitcnt lgkmcnt(0)
	s_barrier
	s_cbranch_scc1 .LBB77_1
; %bb.2:
	s_load_dwordx2 s[2:3], s[4:5], 0x10
	v_lshlrev_b32_e32 v1, 3, v1
	v_lshlrev_b32_e32 v0, 3, v0
	s_waitcnt lgkmcnt(0)
	s_add_u32 s0, s2, s0
	s_addc_u32 s1, s3, s1
	v_mov_b32_e32 v18, s1
	v_add_co_u32_e32 v1, vcc, s0, v1
	v_addc_co_u32_e32 v18, vcc, 0, v18, vcc
	v_add_co_u32_e32 v0, vcc, v1, v0
	v_addc_co_u32_e32 v1, vcc, 0, v18, vcc
	global_store_dwordx2 v[0:1], v[14:15], off
	global_store_dwordx2 v[0:1], v[16:17], off offset:512
	global_store_dwordx2 v[0:1], v[10:11], off offset:1024
	;; [unrolled: 1-line block ×7, first 2 shown]
	s_endpgm
	.section	.rodata,"a",@progbits
	.p2align	6, 0x0
	.amdhsa_kernel _Z6kernelI23blocked_to_warp_stripedxLj256ELj8ELj100EEvPKT0_PKjPS1_
		.amdhsa_group_segment_fixed_size 16896
		.amdhsa_private_segment_fixed_size 0
		.amdhsa_kernarg_size 24
		.amdhsa_user_sgpr_count 6
		.amdhsa_user_sgpr_private_segment_buffer 1
		.amdhsa_user_sgpr_dispatch_ptr 0
		.amdhsa_user_sgpr_queue_ptr 0
		.amdhsa_user_sgpr_kernarg_segment_ptr 1
		.amdhsa_user_sgpr_dispatch_id 0
		.amdhsa_user_sgpr_flat_scratch_init 0
		.amdhsa_user_sgpr_kernarg_preload_length 0
		.amdhsa_user_sgpr_kernarg_preload_offset 0
		.amdhsa_user_sgpr_private_segment_size 0
		.amdhsa_uses_dynamic_stack 0
		.amdhsa_system_sgpr_private_segment_wavefront_offset 0
		.amdhsa_system_sgpr_workgroup_id_x 1
		.amdhsa_system_sgpr_workgroup_id_y 0
		.amdhsa_system_sgpr_workgroup_id_z 0
		.amdhsa_system_sgpr_workgroup_info 0
		.amdhsa_system_vgpr_workitem_id 0
		.amdhsa_next_free_vgpr 28
		.amdhsa_next_free_sgpr 7
		.amdhsa_accum_offset 28
		.amdhsa_reserve_vcc 1
		.amdhsa_reserve_flat_scratch 0
		.amdhsa_float_round_mode_32 0
		.amdhsa_float_round_mode_16_64 0
		.amdhsa_float_denorm_mode_32 3
		.amdhsa_float_denorm_mode_16_64 3
		.amdhsa_dx10_clamp 1
		.amdhsa_ieee_mode 1
		.amdhsa_fp16_overflow 0
		.amdhsa_tg_split 0
		.amdhsa_exception_fp_ieee_invalid_op 0
		.amdhsa_exception_fp_denorm_src 0
		.amdhsa_exception_fp_ieee_div_zero 0
		.amdhsa_exception_fp_ieee_overflow 0
		.amdhsa_exception_fp_ieee_underflow 0
		.amdhsa_exception_fp_ieee_inexact 0
		.amdhsa_exception_int_div_zero 0
	.end_amdhsa_kernel
	.section	.text._Z6kernelI23blocked_to_warp_stripedxLj256ELj8ELj100EEvPKT0_PKjPS1_,"axG",@progbits,_Z6kernelI23blocked_to_warp_stripedxLj256ELj8ELj100EEvPKT0_PKjPS1_,comdat
.Lfunc_end77:
	.size	_Z6kernelI23blocked_to_warp_stripedxLj256ELj8ELj100EEvPKT0_PKjPS1_, .Lfunc_end77-_Z6kernelI23blocked_to_warp_stripedxLj256ELj8ELj100EEvPKT0_PKjPS1_
                                        ; -- End function
	.section	.AMDGPU.csdata,"",@progbits
; Kernel info:
; codeLenInByte = 520
; NumSgprs: 11
; NumVgprs: 28
; NumAgprs: 0
; TotalNumVgprs: 28
; ScratchSize: 0
; MemoryBound: 0
; FloatMode: 240
; IeeeMode: 1
; LDSByteSize: 16896 bytes/workgroup (compile time only)
; SGPRBlocks: 1
; VGPRBlocks: 3
; NumSGPRsForWavesPerEU: 11
; NumVGPRsForWavesPerEU: 28
; AccumOffset: 28
; Occupancy: 3
; WaveLimiterHint : 1
; COMPUTE_PGM_RSRC2:SCRATCH_EN: 0
; COMPUTE_PGM_RSRC2:USER_SGPR: 6
; COMPUTE_PGM_RSRC2:TRAP_HANDLER: 0
; COMPUTE_PGM_RSRC2:TGID_X_EN: 1
; COMPUTE_PGM_RSRC2:TGID_Y_EN: 0
; COMPUTE_PGM_RSRC2:TGID_Z_EN: 0
; COMPUTE_PGM_RSRC2:TIDIG_COMP_CNT: 0
; COMPUTE_PGM_RSRC3_GFX90A:ACCUM_OFFSET: 6
; COMPUTE_PGM_RSRC3_GFX90A:TG_SPLIT: 0
	.section	.text._Z6kernelI23blocked_to_warp_stripedN15benchmark_utils11custom_typeIffEELj256ELj1ELj100EEvPKT0_PKjPS4_,"axG",@progbits,_Z6kernelI23blocked_to_warp_stripedN15benchmark_utils11custom_typeIffEELj256ELj1ELj100EEvPKT0_PKjPS4_,comdat
	.protected	_Z6kernelI23blocked_to_warp_stripedN15benchmark_utils11custom_typeIffEELj256ELj1ELj100EEvPKT0_PKjPS4_ ; -- Begin function _Z6kernelI23blocked_to_warp_stripedN15benchmark_utils11custom_typeIffEELj256ELj1ELj100EEvPKT0_PKjPS4_
	.globl	_Z6kernelI23blocked_to_warp_stripedN15benchmark_utils11custom_typeIffEELj256ELj1ELj100EEvPKT0_PKjPS4_
	.p2align	8
	.type	_Z6kernelI23blocked_to_warp_stripedN15benchmark_utils11custom_typeIffEELj256ELj1ELj100EEvPKT0_PKjPS4_,@function
_Z6kernelI23blocked_to_warp_stripedN15benchmark_utils11custom_typeIffEELj256ELj1ELj100EEvPKT0_PKjPS4_: ; @_Z6kernelI23blocked_to_warp_stripedN15benchmark_utils11custom_typeIffEELj256ELj1ELj100EEvPKT0_PKjPS4_
; %bb.0:
	s_load_dwordx2 s[2:3], s[4:5], 0x0
	s_lshl_b32 s0, s6, 8
	s_mov_b32 s1, 0
	s_lshl_b64 s[0:1], s[0:1], 3
	v_lshlrev_b32_e32 v1, 3, v0
	s_waitcnt lgkmcnt(0)
	s_add_u32 s2, s2, s0
	s_addc_u32 s3, s3, s1
	global_load_dwordx2 v[2:3], v1, s[2:3]
	v_mbcnt_lo_u32_b32 v1, -1, 0
	v_and_b32_e32 v0, 0xc0, v0
	v_mbcnt_hi_u32_b32 v1, -1, v1
	v_lshlrev_b32_e32 v0, 3, v0
	v_lshl_add_u32 v4, v1, 3, v0
	s_movk_i32 s2, 0x64
.LBB78_1:                               ; =>This Inner Loop Header: Depth=1
	s_waitcnt vmcnt(0)
	ds_write_b64 v4, v[2:3]
	; wave barrier
	ds_read_b64 v[2:3], v4
	s_add_i32 s2, s2, -1
	s_cmp_lg_u32 s2, 0
	s_waitcnt lgkmcnt(0)
	s_barrier
	s_cbranch_scc1 .LBB78_1
; %bb.2:
	s_load_dwordx2 s[2:3], s[4:5], 0x10
	v_lshlrev_b32_e32 v1, 3, v1
	s_waitcnt lgkmcnt(0)
	s_add_u32 s0, s2, s0
	s_addc_u32 s1, s3, s1
	v_mov_b32_e32 v4, s1
	v_add_co_u32_e32 v1, vcc, s0, v1
	v_addc_co_u32_e32 v4, vcc, 0, v4, vcc
	v_add_co_u32_e32 v0, vcc, v1, v0
	v_addc_co_u32_e32 v1, vcc, 0, v4, vcc
	global_store_dwordx2 v[0:1], v[2:3], off
	s_endpgm
	.section	.rodata,"a",@progbits
	.p2align	6, 0x0
	.amdhsa_kernel _Z6kernelI23blocked_to_warp_stripedN15benchmark_utils11custom_typeIffEELj256ELj1ELj100EEvPKT0_PKjPS4_
		.amdhsa_group_segment_fixed_size 2048
		.amdhsa_private_segment_fixed_size 0
		.amdhsa_kernarg_size 24
		.amdhsa_user_sgpr_count 6
		.amdhsa_user_sgpr_private_segment_buffer 1
		.amdhsa_user_sgpr_dispatch_ptr 0
		.amdhsa_user_sgpr_queue_ptr 0
		.amdhsa_user_sgpr_kernarg_segment_ptr 1
		.amdhsa_user_sgpr_dispatch_id 0
		.amdhsa_user_sgpr_flat_scratch_init 0
		.amdhsa_user_sgpr_kernarg_preload_length 0
		.amdhsa_user_sgpr_kernarg_preload_offset 0
		.amdhsa_user_sgpr_private_segment_size 0
		.amdhsa_uses_dynamic_stack 0
		.amdhsa_system_sgpr_private_segment_wavefront_offset 0
		.amdhsa_system_sgpr_workgroup_id_x 1
		.amdhsa_system_sgpr_workgroup_id_y 0
		.amdhsa_system_sgpr_workgroup_id_z 0
		.amdhsa_system_sgpr_workgroup_info 0
		.amdhsa_system_vgpr_workitem_id 0
		.amdhsa_next_free_vgpr 5
		.amdhsa_next_free_sgpr 7
		.amdhsa_accum_offset 8
		.amdhsa_reserve_vcc 1
		.amdhsa_reserve_flat_scratch 0
		.amdhsa_float_round_mode_32 0
		.amdhsa_float_round_mode_16_64 0
		.amdhsa_float_denorm_mode_32 3
		.amdhsa_float_denorm_mode_16_64 3
		.amdhsa_dx10_clamp 1
		.amdhsa_ieee_mode 1
		.amdhsa_fp16_overflow 0
		.amdhsa_tg_split 0
		.amdhsa_exception_fp_ieee_invalid_op 0
		.amdhsa_exception_fp_denorm_src 0
		.amdhsa_exception_fp_ieee_div_zero 0
		.amdhsa_exception_fp_ieee_overflow 0
		.amdhsa_exception_fp_ieee_underflow 0
		.amdhsa_exception_fp_ieee_inexact 0
		.amdhsa_exception_int_div_zero 0
	.end_amdhsa_kernel
	.section	.text._Z6kernelI23blocked_to_warp_stripedN15benchmark_utils11custom_typeIffEELj256ELj1ELj100EEvPKT0_PKjPS4_,"axG",@progbits,_Z6kernelI23blocked_to_warp_stripedN15benchmark_utils11custom_typeIffEELj256ELj1ELj100EEvPKT0_PKjPS4_,comdat
.Lfunc_end78:
	.size	_Z6kernelI23blocked_to_warp_stripedN15benchmark_utils11custom_typeIffEELj256ELj1ELj100EEvPKT0_PKjPS4_, .Lfunc_end78-_Z6kernelI23blocked_to_warp_stripedN15benchmark_utils11custom_typeIffEELj256ELj1ELj100EEvPKT0_PKjPS4_
                                        ; -- End function
	.section	.AMDGPU.csdata,"",@progbits
; Kernel info:
; codeLenInByte = 180
; NumSgprs: 11
; NumVgprs: 5
; NumAgprs: 0
; TotalNumVgprs: 5
; ScratchSize: 0
; MemoryBound: 0
; FloatMode: 240
; IeeeMode: 1
; LDSByteSize: 2048 bytes/workgroup (compile time only)
; SGPRBlocks: 1
; VGPRBlocks: 0
; NumSGPRsForWavesPerEU: 11
; NumVGPRsForWavesPerEU: 5
; AccumOffset: 8
; Occupancy: 8
; WaveLimiterHint : 0
; COMPUTE_PGM_RSRC2:SCRATCH_EN: 0
; COMPUTE_PGM_RSRC2:USER_SGPR: 6
; COMPUTE_PGM_RSRC2:TRAP_HANDLER: 0
; COMPUTE_PGM_RSRC2:TGID_X_EN: 1
; COMPUTE_PGM_RSRC2:TGID_Y_EN: 0
; COMPUTE_PGM_RSRC2:TGID_Z_EN: 0
; COMPUTE_PGM_RSRC2:TIDIG_COMP_CNT: 0
; COMPUTE_PGM_RSRC3_GFX90A:ACCUM_OFFSET: 1
; COMPUTE_PGM_RSRC3_GFX90A:TG_SPLIT: 0
	.section	.text._Z6kernelI23blocked_to_warp_stripedN15benchmark_utils11custom_typeIffEELj256ELj2ELj100EEvPKT0_PKjPS4_,"axG",@progbits,_Z6kernelI23blocked_to_warp_stripedN15benchmark_utils11custom_typeIffEELj256ELj2ELj100EEvPKT0_PKjPS4_,comdat
	.protected	_Z6kernelI23blocked_to_warp_stripedN15benchmark_utils11custom_typeIffEELj256ELj2ELj100EEvPKT0_PKjPS4_ ; -- Begin function _Z6kernelI23blocked_to_warp_stripedN15benchmark_utils11custom_typeIffEELj256ELj2ELj100EEvPKT0_PKjPS4_
	.globl	_Z6kernelI23blocked_to_warp_stripedN15benchmark_utils11custom_typeIffEELj256ELj2ELj100EEvPKT0_PKjPS4_
	.p2align	8
	.type	_Z6kernelI23blocked_to_warp_stripedN15benchmark_utils11custom_typeIffEELj256ELj2ELj100EEvPKT0_PKjPS4_,@function
_Z6kernelI23blocked_to_warp_stripedN15benchmark_utils11custom_typeIffEELj256ELj2ELj100EEvPKT0_PKjPS4_: ; @_Z6kernelI23blocked_to_warp_stripedN15benchmark_utils11custom_typeIffEELj256ELj2ELj100EEvPKT0_PKjPS4_
; %bb.0:
	s_load_dwordx2 s[2:3], s[4:5], 0x0
	s_lshl_b32 s0, s6, 9
	s_mov_b32 s1, 0
	s_lshl_b64 s[0:1], s[0:1], 3
	v_lshlrev_b32_e32 v1, 4, v0
	s_waitcnt lgkmcnt(0)
	s_add_u32 s2, s2, s0
	s_addc_u32 s3, s3, s1
	global_load_dwordx4 v[2:5], v1, s[2:3]
	v_mbcnt_lo_u32_b32 v1, -1, 0
	v_lshlrev_b32_e32 v7, 1, v0
	v_mbcnt_hi_u32_b32 v1, -1, v1
	v_and_b32_e32 v0, 0xc0, v0
	v_add_u32_e32 v6, v1, v0
	v_add_u16_e32 v0, v1, v0
	v_lshrrev_b16_e32 v0, 1, v0
	v_and_b32_e32 v0, 0xf8, v0
	v_lshl_add_u32 v6, v6, 4, v0
	v_and_b32_e32 v0, 0x180, v7
	v_or_b32_e32 v8, v1, v0
	v_add_u32_e32 v9, 64, v8
	v_lshrrev_b32_e32 v7, 5, v8
	v_lshrrev_b32_e32 v9, 5, v9
	v_add_lshl_u32 v7, v7, v8, 3
	v_add_lshl_u32 v8, v9, v8, 3
	s_movk_i32 s2, 0x64
.LBB79_1:                               ; =>This Inner Loop Header: Depth=1
	s_waitcnt vmcnt(0)
	ds_write2_b64 v6, v[2:3], v[4:5] offset1:1
	; wave barrier
	ds_read_b64 v[2:3], v7
	ds_read_b64 v[4:5], v8 offset:512
	s_add_i32 s2, s2, -1
	s_cmp_lg_u32 s2, 0
	s_waitcnt lgkmcnt(0)
	s_barrier
	s_cbranch_scc1 .LBB79_1
; %bb.2:
	s_load_dwordx2 s[2:3], s[4:5], 0x10
	v_lshlrev_b32_e32 v1, 3, v1
	v_lshlrev_b32_e32 v0, 3, v0
	s_waitcnt lgkmcnt(0)
	s_add_u32 s0, s2, s0
	s_addc_u32 s1, s3, s1
	v_mov_b32_e32 v6, s1
	v_add_co_u32_e32 v1, vcc, s0, v1
	v_addc_co_u32_e32 v6, vcc, 0, v6, vcc
	v_add_co_u32_e32 v0, vcc, v1, v0
	v_addc_co_u32_e32 v1, vcc, 0, v6, vcc
	global_store_dwordx2 v[0:1], v[2:3], off
	global_store_dwordx2 v[0:1], v[4:5], off offset:512
	s_endpgm
	.section	.rodata,"a",@progbits
	.p2align	6, 0x0
	.amdhsa_kernel _Z6kernelI23blocked_to_warp_stripedN15benchmark_utils11custom_typeIffEELj256ELj2ELj100EEvPKT0_PKjPS4_
		.amdhsa_group_segment_fixed_size 4224
		.amdhsa_private_segment_fixed_size 0
		.amdhsa_kernarg_size 24
		.amdhsa_user_sgpr_count 6
		.amdhsa_user_sgpr_private_segment_buffer 1
		.amdhsa_user_sgpr_dispatch_ptr 0
		.amdhsa_user_sgpr_queue_ptr 0
		.amdhsa_user_sgpr_kernarg_segment_ptr 1
		.amdhsa_user_sgpr_dispatch_id 0
		.amdhsa_user_sgpr_flat_scratch_init 0
		.amdhsa_user_sgpr_kernarg_preload_length 0
		.amdhsa_user_sgpr_kernarg_preload_offset 0
		.amdhsa_user_sgpr_private_segment_size 0
		.amdhsa_uses_dynamic_stack 0
		.amdhsa_system_sgpr_private_segment_wavefront_offset 0
		.amdhsa_system_sgpr_workgroup_id_x 1
		.amdhsa_system_sgpr_workgroup_id_y 0
		.amdhsa_system_sgpr_workgroup_id_z 0
		.amdhsa_system_sgpr_workgroup_info 0
		.amdhsa_system_vgpr_workitem_id 0
		.amdhsa_next_free_vgpr 10
		.amdhsa_next_free_sgpr 7
		.amdhsa_accum_offset 12
		.amdhsa_reserve_vcc 1
		.amdhsa_reserve_flat_scratch 0
		.amdhsa_float_round_mode_32 0
		.amdhsa_float_round_mode_16_64 0
		.amdhsa_float_denorm_mode_32 3
		.amdhsa_float_denorm_mode_16_64 3
		.amdhsa_dx10_clamp 1
		.amdhsa_ieee_mode 1
		.amdhsa_fp16_overflow 0
		.amdhsa_tg_split 0
		.amdhsa_exception_fp_ieee_invalid_op 0
		.amdhsa_exception_fp_denorm_src 0
		.amdhsa_exception_fp_ieee_div_zero 0
		.amdhsa_exception_fp_ieee_overflow 0
		.amdhsa_exception_fp_ieee_underflow 0
		.amdhsa_exception_fp_ieee_inexact 0
		.amdhsa_exception_int_div_zero 0
	.end_amdhsa_kernel
	.section	.text._Z6kernelI23blocked_to_warp_stripedN15benchmark_utils11custom_typeIffEELj256ELj2ELj100EEvPKT0_PKjPS4_,"axG",@progbits,_Z6kernelI23blocked_to_warp_stripedN15benchmark_utils11custom_typeIffEELj256ELj2ELj100EEvPKT0_PKjPS4_,comdat
.Lfunc_end79:
	.size	_Z6kernelI23blocked_to_warp_stripedN15benchmark_utils11custom_typeIffEELj256ELj2ELj100EEvPKT0_PKjPS4_, .Lfunc_end79-_Z6kernelI23blocked_to_warp_stripedN15benchmark_utils11custom_typeIffEELj256ELj2ELj100EEvPKT0_PKjPS4_
                                        ; -- End function
	.section	.AMDGPU.csdata,"",@progbits
; Kernel info:
; codeLenInByte = 260
; NumSgprs: 11
; NumVgprs: 10
; NumAgprs: 0
; TotalNumVgprs: 10
; ScratchSize: 0
; MemoryBound: 0
; FloatMode: 240
; IeeeMode: 1
; LDSByteSize: 4224 bytes/workgroup (compile time only)
; SGPRBlocks: 1
; VGPRBlocks: 1
; NumSGPRsForWavesPerEU: 11
; NumVGPRsForWavesPerEU: 10
; AccumOffset: 12
; Occupancy: 8
; WaveLimiterHint : 1
; COMPUTE_PGM_RSRC2:SCRATCH_EN: 0
; COMPUTE_PGM_RSRC2:USER_SGPR: 6
; COMPUTE_PGM_RSRC2:TRAP_HANDLER: 0
; COMPUTE_PGM_RSRC2:TGID_X_EN: 1
; COMPUTE_PGM_RSRC2:TGID_Y_EN: 0
; COMPUTE_PGM_RSRC2:TGID_Z_EN: 0
; COMPUTE_PGM_RSRC2:TIDIG_COMP_CNT: 0
; COMPUTE_PGM_RSRC3_GFX90A:ACCUM_OFFSET: 2
; COMPUTE_PGM_RSRC3_GFX90A:TG_SPLIT: 0
	.section	.text._Z6kernelI23blocked_to_warp_stripedN15benchmark_utils11custom_typeIffEELj256ELj3ELj100EEvPKT0_PKjPS4_,"axG",@progbits,_Z6kernelI23blocked_to_warp_stripedN15benchmark_utils11custom_typeIffEELj256ELj3ELj100EEvPKT0_PKjPS4_,comdat
	.protected	_Z6kernelI23blocked_to_warp_stripedN15benchmark_utils11custom_typeIffEELj256ELj3ELj100EEvPKT0_PKjPS4_ ; -- Begin function _Z6kernelI23blocked_to_warp_stripedN15benchmark_utils11custom_typeIffEELj256ELj3ELj100EEvPKT0_PKjPS4_
	.globl	_Z6kernelI23blocked_to_warp_stripedN15benchmark_utils11custom_typeIffEELj256ELj3ELj100EEvPKT0_PKjPS4_
	.p2align	8
	.type	_Z6kernelI23blocked_to_warp_stripedN15benchmark_utils11custom_typeIffEELj256ELj3ELj100EEvPKT0_PKjPS4_,@function
_Z6kernelI23blocked_to_warp_stripedN15benchmark_utils11custom_typeIffEELj256ELj3ELj100EEvPKT0_PKjPS4_: ; @_Z6kernelI23blocked_to_warp_stripedN15benchmark_utils11custom_typeIffEELj256ELj3ELj100EEvPKT0_PKjPS4_
; %bb.0:
	s_load_dwordx2 s[2:3], s[4:5], 0x0
	s_mul_i32 s0, s6, 0x300
	s_mov_b32 s1, 0
	s_lshl_b64 s[0:1], s[0:1], 3
	v_mul_u32_u24_e32 v1, 3, v0
	s_waitcnt lgkmcnt(0)
	s_add_u32 s2, s2, s0
	s_addc_u32 s3, s3, s1
	v_lshlrev_b32_e32 v1, 3, v1
	global_load_dwordx2 v[6:7], v1, s[2:3] offset:16
	global_load_dwordx4 v[2:5], v1, s[2:3]
	v_lshrrev_b32_e32 v8, 6, v0
	v_mbcnt_lo_u32_b32 v1, -1, 0
	v_mul_u32_u24_e32 v9, 0xc0, v8
	v_mbcnt_hi_u32_b32 v1, -1, v1
	v_lshlrev_b32_e32 v8, 3, v9
	v_mad_u32_u24 v8, v1, 24, v8
	v_add_lshl_u32 v9, v1, v9, 3
	s_movk_i32 s2, 0x64
.LBB80_1:                               ; =>This Inner Loop Header: Depth=1
	s_waitcnt vmcnt(0)
	ds_write2_b64 v8, v[2:3], v[4:5] offset1:1
	ds_write_b64 v8, v[6:7] offset:16
	; wave barrier
	ds_read2st64_b64 v[2:5], v9 offset1:1
	ds_read_b64 v[6:7], v9 offset:1024
	s_add_i32 s2, s2, -1
	s_cmp_lg_u32 s2, 0
	s_waitcnt lgkmcnt(0)
	s_barrier
	s_cbranch_scc1 .LBB80_1
; %bb.2:
	s_load_dwordx2 s[2:3], s[4:5], 0x10
	v_and_b32_e32 v0, 0xc0, v0
	v_lshlrev_b32_e32 v1, 3, v1
	v_mul_u32_u24_e32 v0, 3, v0
	v_lshlrev_b32_e32 v0, 3, v0
	s_waitcnt lgkmcnt(0)
	s_add_u32 s0, s2, s0
	s_addc_u32 s1, s3, s1
	v_mov_b32_e32 v8, s1
	v_add_co_u32_e32 v1, vcc, s0, v1
	v_addc_co_u32_e32 v8, vcc, 0, v8, vcc
	v_add_co_u32_e32 v0, vcc, v1, v0
	v_addc_co_u32_e32 v1, vcc, 0, v8, vcc
	global_store_dwordx2 v[0:1], v[2:3], off
	global_store_dwordx2 v[0:1], v[4:5], off offset:512
	global_store_dwordx2 v[0:1], v[6:7], off offset:1024
	s_endpgm
	.section	.rodata,"a",@progbits
	.p2align	6, 0x0
	.amdhsa_kernel _Z6kernelI23blocked_to_warp_stripedN15benchmark_utils11custom_typeIffEELj256ELj3ELj100EEvPKT0_PKjPS4_
		.amdhsa_group_segment_fixed_size 6144
		.amdhsa_private_segment_fixed_size 0
		.amdhsa_kernarg_size 24
		.amdhsa_user_sgpr_count 6
		.amdhsa_user_sgpr_private_segment_buffer 1
		.amdhsa_user_sgpr_dispatch_ptr 0
		.amdhsa_user_sgpr_queue_ptr 0
		.amdhsa_user_sgpr_kernarg_segment_ptr 1
		.amdhsa_user_sgpr_dispatch_id 0
		.amdhsa_user_sgpr_flat_scratch_init 0
		.amdhsa_user_sgpr_kernarg_preload_length 0
		.amdhsa_user_sgpr_kernarg_preload_offset 0
		.amdhsa_user_sgpr_private_segment_size 0
		.amdhsa_uses_dynamic_stack 0
		.amdhsa_system_sgpr_private_segment_wavefront_offset 0
		.amdhsa_system_sgpr_workgroup_id_x 1
		.amdhsa_system_sgpr_workgroup_id_y 0
		.amdhsa_system_sgpr_workgroup_id_z 0
		.amdhsa_system_sgpr_workgroup_info 0
		.amdhsa_system_vgpr_workitem_id 0
		.amdhsa_next_free_vgpr 10
		.amdhsa_next_free_sgpr 7
		.amdhsa_accum_offset 12
		.amdhsa_reserve_vcc 1
		.amdhsa_reserve_flat_scratch 0
		.amdhsa_float_round_mode_32 0
		.amdhsa_float_round_mode_16_64 0
		.amdhsa_float_denorm_mode_32 3
		.amdhsa_float_denorm_mode_16_64 3
		.amdhsa_dx10_clamp 1
		.amdhsa_ieee_mode 1
		.amdhsa_fp16_overflow 0
		.amdhsa_tg_split 0
		.amdhsa_exception_fp_ieee_invalid_op 0
		.amdhsa_exception_fp_denorm_src 0
		.amdhsa_exception_fp_ieee_div_zero 0
		.amdhsa_exception_fp_ieee_overflow 0
		.amdhsa_exception_fp_ieee_underflow 0
		.amdhsa_exception_fp_ieee_inexact 0
		.amdhsa_exception_int_div_zero 0
	.end_amdhsa_kernel
	.section	.text._Z6kernelI23blocked_to_warp_stripedN15benchmark_utils11custom_typeIffEELj256ELj3ELj100EEvPKT0_PKjPS4_,"axG",@progbits,_Z6kernelI23blocked_to_warp_stripedN15benchmark_utils11custom_typeIffEELj256ELj3ELj100EEvPKT0_PKjPS4_,comdat
.Lfunc_end80:
	.size	_Z6kernelI23blocked_to_warp_stripedN15benchmark_utils11custom_typeIffEELj256ELj3ELj100EEvPKT0_PKjPS4_, .Lfunc_end80-_Z6kernelI23blocked_to_warp_stripedN15benchmark_utils11custom_typeIffEELj256ELj3ELj100EEvPKT0_PKjPS4_
                                        ; -- End function
	.section	.AMDGPU.csdata,"",@progbits
; Kernel info:
; codeLenInByte = 256
; NumSgprs: 11
; NumVgprs: 10
; NumAgprs: 0
; TotalNumVgprs: 10
; ScratchSize: 0
; MemoryBound: 0
; FloatMode: 240
; IeeeMode: 1
; LDSByteSize: 6144 bytes/workgroup (compile time only)
; SGPRBlocks: 1
; VGPRBlocks: 1
; NumSGPRsForWavesPerEU: 11
; NumVGPRsForWavesPerEU: 10
; AccumOffset: 12
; Occupancy: 8
; WaveLimiterHint : 1
; COMPUTE_PGM_RSRC2:SCRATCH_EN: 0
; COMPUTE_PGM_RSRC2:USER_SGPR: 6
; COMPUTE_PGM_RSRC2:TRAP_HANDLER: 0
; COMPUTE_PGM_RSRC2:TGID_X_EN: 1
; COMPUTE_PGM_RSRC2:TGID_Y_EN: 0
; COMPUTE_PGM_RSRC2:TGID_Z_EN: 0
; COMPUTE_PGM_RSRC2:TIDIG_COMP_CNT: 0
; COMPUTE_PGM_RSRC3_GFX90A:ACCUM_OFFSET: 2
; COMPUTE_PGM_RSRC3_GFX90A:TG_SPLIT: 0
	.section	.text._Z6kernelI23blocked_to_warp_stripedN15benchmark_utils11custom_typeIffEELj256ELj4ELj100EEvPKT0_PKjPS4_,"axG",@progbits,_Z6kernelI23blocked_to_warp_stripedN15benchmark_utils11custom_typeIffEELj256ELj4ELj100EEvPKT0_PKjPS4_,comdat
	.protected	_Z6kernelI23blocked_to_warp_stripedN15benchmark_utils11custom_typeIffEELj256ELj4ELj100EEvPKT0_PKjPS4_ ; -- Begin function _Z6kernelI23blocked_to_warp_stripedN15benchmark_utils11custom_typeIffEELj256ELj4ELj100EEvPKT0_PKjPS4_
	.globl	_Z6kernelI23blocked_to_warp_stripedN15benchmark_utils11custom_typeIffEELj256ELj4ELj100EEvPKT0_PKjPS4_
	.p2align	8
	.type	_Z6kernelI23blocked_to_warp_stripedN15benchmark_utils11custom_typeIffEELj256ELj4ELj100EEvPKT0_PKjPS4_,@function
_Z6kernelI23blocked_to_warp_stripedN15benchmark_utils11custom_typeIffEELj256ELj4ELj100EEvPKT0_PKjPS4_: ; @_Z6kernelI23blocked_to_warp_stripedN15benchmark_utils11custom_typeIffEELj256ELj4ELj100EEvPKT0_PKjPS4_
; %bb.0:
	s_load_dwordx2 s[2:3], s[4:5], 0x0
	s_lshl_b32 s0, s6, 10
	s_mov_b32 s1, 0
	s_lshl_b64 s[0:1], s[0:1], 3
	v_lshlrev_b32_e32 v1, 5, v0
	s_waitcnt lgkmcnt(0)
	s_add_u32 s2, s2, s0
	s_addc_u32 s3, s3, s1
	global_load_dwordx4 v[2:5], v1, s[2:3] offset:16
	global_load_dwordx4 v[6:9], v1, s[2:3]
	v_mbcnt_lo_u32_b32 v1, -1, 0
	v_lshlrev_b32_e32 v11, 2, v0
	v_mbcnt_hi_u32_b32 v1, -1, v1
	v_and_b32_e32 v0, 0xc0, v0
	v_add_u32_e32 v0, v1, v0
	v_and_b32_e32 v10, 0x1f8, v0
	v_lshl_add_u32 v10, v0, 5, v10
	v_and_b32_e32 v0, 0x300, v11
	v_or_b32_e32 v14, v1, v0
	v_add_u32_e32 v12, 64, v14
	v_or_b32_e32 v13, 0x80, v14
	v_add_u32_e32 v15, 0xc0, v14
	v_lshrrev_b32_e32 v11, 5, v14
	v_lshrrev_b32_e32 v12, 5, v12
	;; [unrolled: 1-line block ×4, first 2 shown]
	v_add_lshl_u32 v11, v11, v14, 3
	v_add_lshl_u32 v12, v12, v14, 3
	;; [unrolled: 1-line block ×4, first 2 shown]
	s_movk_i32 s2, 0x64
.LBB81_1:                               ; =>This Inner Loop Header: Depth=1
	s_waitcnt vmcnt(0)
	ds_write2_b64 v10, v[6:7], v[8:9] offset1:1
	ds_write2_b64 v10, v[2:3], v[4:5] offset0:2 offset1:3
	; wave barrier
	ds_read_b64 v[6:7], v11
	ds_read_b64 v[8:9], v12 offset:512
	ds_read_b64 v[2:3], v13 offset:1024
	ds_read_b64 v[4:5], v14 offset:1536
	s_add_i32 s2, s2, -1
	s_cmp_lg_u32 s2, 0
	s_waitcnt lgkmcnt(0)
	s_barrier
	s_cbranch_scc1 .LBB81_1
; %bb.2:
	s_load_dwordx2 s[2:3], s[4:5], 0x10
	v_lshlrev_b32_e32 v1, 3, v1
	v_lshlrev_b32_e32 v0, 3, v0
	s_waitcnt lgkmcnt(0)
	s_add_u32 s0, s2, s0
	s_addc_u32 s1, s3, s1
	v_mov_b32_e32 v10, s1
	v_add_co_u32_e32 v1, vcc, s0, v1
	v_addc_co_u32_e32 v10, vcc, 0, v10, vcc
	v_add_co_u32_e32 v0, vcc, v1, v0
	v_addc_co_u32_e32 v1, vcc, 0, v10, vcc
	global_store_dwordx2 v[0:1], v[6:7], off
	global_store_dwordx2 v[0:1], v[8:9], off offset:512
	global_store_dwordx2 v[0:1], v[2:3], off offset:1024
	;; [unrolled: 1-line block ×3, first 2 shown]
	s_endpgm
	.section	.rodata,"a",@progbits
	.p2align	6, 0x0
	.amdhsa_kernel _Z6kernelI23blocked_to_warp_stripedN15benchmark_utils11custom_typeIffEELj256ELj4ELj100EEvPKT0_PKjPS4_
		.amdhsa_group_segment_fixed_size 8448
		.amdhsa_private_segment_fixed_size 0
		.amdhsa_kernarg_size 24
		.amdhsa_user_sgpr_count 6
		.amdhsa_user_sgpr_private_segment_buffer 1
		.amdhsa_user_sgpr_dispatch_ptr 0
		.amdhsa_user_sgpr_queue_ptr 0
		.amdhsa_user_sgpr_kernarg_segment_ptr 1
		.amdhsa_user_sgpr_dispatch_id 0
		.amdhsa_user_sgpr_flat_scratch_init 0
		.amdhsa_user_sgpr_kernarg_preload_length 0
		.amdhsa_user_sgpr_kernarg_preload_offset 0
		.amdhsa_user_sgpr_private_segment_size 0
		.amdhsa_uses_dynamic_stack 0
		.amdhsa_system_sgpr_private_segment_wavefront_offset 0
		.amdhsa_system_sgpr_workgroup_id_x 1
		.amdhsa_system_sgpr_workgroup_id_y 0
		.amdhsa_system_sgpr_workgroup_id_z 0
		.amdhsa_system_sgpr_workgroup_info 0
		.amdhsa_system_vgpr_workitem_id 0
		.amdhsa_next_free_vgpr 16
		.amdhsa_next_free_sgpr 7
		.amdhsa_accum_offset 16
		.amdhsa_reserve_vcc 1
		.amdhsa_reserve_flat_scratch 0
		.amdhsa_float_round_mode_32 0
		.amdhsa_float_round_mode_16_64 0
		.amdhsa_float_denorm_mode_32 3
		.amdhsa_float_denorm_mode_16_64 3
		.amdhsa_dx10_clamp 1
		.amdhsa_ieee_mode 1
		.amdhsa_fp16_overflow 0
		.amdhsa_tg_split 0
		.amdhsa_exception_fp_ieee_invalid_op 0
		.amdhsa_exception_fp_denorm_src 0
		.amdhsa_exception_fp_ieee_div_zero 0
		.amdhsa_exception_fp_ieee_overflow 0
		.amdhsa_exception_fp_ieee_underflow 0
		.amdhsa_exception_fp_ieee_inexact 0
		.amdhsa_exception_int_div_zero 0
	.end_amdhsa_kernel
	.section	.text._Z6kernelI23blocked_to_warp_stripedN15benchmark_utils11custom_typeIffEELj256ELj4ELj100EEvPKT0_PKjPS4_,"axG",@progbits,_Z6kernelI23blocked_to_warp_stripedN15benchmark_utils11custom_typeIffEELj256ELj4ELj100EEvPKT0_PKjPS4_,comdat
.Lfunc_end81:
	.size	_Z6kernelI23blocked_to_warp_stripedN15benchmark_utils11custom_typeIffEELj256ELj4ELj100EEvPKT0_PKjPS4_, .Lfunc_end81-_Z6kernelI23blocked_to_warp_stripedN15benchmark_utils11custom_typeIffEELj256ELj4ELj100EEvPKT0_PKjPS4_
                                        ; -- End function
	.section	.AMDGPU.csdata,"",@progbits
; Kernel info:
; codeLenInByte = 340
; NumSgprs: 11
; NumVgprs: 16
; NumAgprs: 0
; TotalNumVgprs: 16
; ScratchSize: 0
; MemoryBound: 0
; FloatMode: 240
; IeeeMode: 1
; LDSByteSize: 8448 bytes/workgroup (compile time only)
; SGPRBlocks: 1
; VGPRBlocks: 1
; NumSGPRsForWavesPerEU: 11
; NumVGPRsForWavesPerEU: 16
; AccumOffset: 16
; Occupancy: 7
; WaveLimiterHint : 1
; COMPUTE_PGM_RSRC2:SCRATCH_EN: 0
; COMPUTE_PGM_RSRC2:USER_SGPR: 6
; COMPUTE_PGM_RSRC2:TRAP_HANDLER: 0
; COMPUTE_PGM_RSRC2:TGID_X_EN: 1
; COMPUTE_PGM_RSRC2:TGID_Y_EN: 0
; COMPUTE_PGM_RSRC2:TGID_Z_EN: 0
; COMPUTE_PGM_RSRC2:TIDIG_COMP_CNT: 0
; COMPUTE_PGM_RSRC3_GFX90A:ACCUM_OFFSET: 3
; COMPUTE_PGM_RSRC3_GFX90A:TG_SPLIT: 0
	.section	.text._Z6kernelI23blocked_to_warp_stripedN15benchmark_utils11custom_typeIffEELj256ELj7ELj100EEvPKT0_PKjPS4_,"axG",@progbits,_Z6kernelI23blocked_to_warp_stripedN15benchmark_utils11custom_typeIffEELj256ELj7ELj100EEvPKT0_PKjPS4_,comdat
	.protected	_Z6kernelI23blocked_to_warp_stripedN15benchmark_utils11custom_typeIffEELj256ELj7ELj100EEvPKT0_PKjPS4_ ; -- Begin function _Z6kernelI23blocked_to_warp_stripedN15benchmark_utils11custom_typeIffEELj256ELj7ELj100EEvPKT0_PKjPS4_
	.globl	_Z6kernelI23blocked_to_warp_stripedN15benchmark_utils11custom_typeIffEELj256ELj7ELj100EEvPKT0_PKjPS4_
	.p2align	8
	.type	_Z6kernelI23blocked_to_warp_stripedN15benchmark_utils11custom_typeIffEELj256ELj7ELj100EEvPKT0_PKjPS4_,@function
_Z6kernelI23blocked_to_warp_stripedN15benchmark_utils11custom_typeIffEELj256ELj7ELj100EEvPKT0_PKjPS4_: ; @_Z6kernelI23blocked_to_warp_stripedN15benchmark_utils11custom_typeIffEELj256ELj7ELj100EEvPKT0_PKjPS4_
; %bb.0:
	s_load_dwordx2 s[2:3], s[4:5], 0x0
	s_mul_i32 s0, s6, 0x700
	s_mov_b32 s1, 0
	s_lshl_b64 s[0:1], s[0:1], 3
	v_mul_u32_u24_e32 v1, 7, v0
	s_waitcnt lgkmcnt(0)
	s_add_u32 s2, s2, s0
	s_addc_u32 s3, s3, s1
	v_lshlrev_b32_e32 v1, 3, v1
	global_load_dwordx2 v[14:15], v1, s[2:3] offset:48
	global_load_dwordx4 v[2:5], v1, s[2:3] offset:32
	global_load_dwordx4 v[6:9], v1, s[2:3] offset:16
	global_load_dwordx4 v[10:13], v1, s[2:3]
	v_lshrrev_b32_e32 v16, 6, v0
	v_mbcnt_lo_u32_b32 v1, -1, 0
	v_mul_u32_u24_e32 v17, 0x1c0, v16
	v_mbcnt_hi_u32_b32 v1, -1, v1
	v_lshlrev_b32_e32 v16, 3, v17
	v_mad_u32_u24 v16, v1, 56, v16
	v_add_lshl_u32 v17, v1, v17, 3
	s_movk_i32 s2, 0x64
.LBB82_1:                               ; =>This Inner Loop Header: Depth=1
	s_waitcnt vmcnt(0)
	ds_write2_b64 v16, v[10:11], v[12:13] offset1:1
	ds_write2_b64 v16, v[6:7], v[8:9] offset0:2 offset1:3
	ds_write2_b64 v16, v[2:3], v[4:5] offset0:4 offset1:5
	ds_write_b64 v16, v[14:15] offset:48
	; wave barrier
	ds_read2st64_b64 v[10:13], v17 offset1:1
	ds_read2st64_b64 v[6:9], v17 offset0:2 offset1:3
	ds_read2st64_b64 v[2:5], v17 offset0:4 offset1:5
	ds_read_b64 v[14:15], v17 offset:3072
	s_add_i32 s2, s2, -1
	s_cmp_lg_u32 s2, 0
	s_waitcnt lgkmcnt(0)
	s_barrier
	s_cbranch_scc1 .LBB82_1
; %bb.2:
	s_load_dwordx2 s[2:3], s[4:5], 0x10
	v_and_b32_e32 v0, 0xc0, v0
	v_lshlrev_b32_e32 v1, 3, v1
	v_mul_u32_u24_e32 v0, 7, v0
	v_lshlrev_b32_e32 v0, 3, v0
	s_waitcnt lgkmcnt(0)
	s_add_u32 s0, s2, s0
	s_addc_u32 s1, s3, s1
	v_mov_b32_e32 v16, s1
	v_add_co_u32_e32 v1, vcc, s0, v1
	v_addc_co_u32_e32 v16, vcc, 0, v16, vcc
	v_add_co_u32_e32 v0, vcc, v1, v0
	v_addc_co_u32_e32 v1, vcc, 0, v16, vcc
	global_store_dwordx2 v[0:1], v[10:11], off
	global_store_dwordx2 v[0:1], v[12:13], off offset:512
	global_store_dwordx2 v[0:1], v[6:7], off offset:1024
	;; [unrolled: 1-line block ×6, first 2 shown]
	s_endpgm
	.section	.rodata,"a",@progbits
	.p2align	6, 0x0
	.amdhsa_kernel _Z6kernelI23blocked_to_warp_stripedN15benchmark_utils11custom_typeIffEELj256ELj7ELj100EEvPKT0_PKjPS4_
		.amdhsa_group_segment_fixed_size 14336
		.amdhsa_private_segment_fixed_size 0
		.amdhsa_kernarg_size 24
		.amdhsa_user_sgpr_count 6
		.amdhsa_user_sgpr_private_segment_buffer 1
		.amdhsa_user_sgpr_dispatch_ptr 0
		.amdhsa_user_sgpr_queue_ptr 0
		.amdhsa_user_sgpr_kernarg_segment_ptr 1
		.amdhsa_user_sgpr_dispatch_id 0
		.amdhsa_user_sgpr_flat_scratch_init 0
		.amdhsa_user_sgpr_kernarg_preload_length 0
		.amdhsa_user_sgpr_kernarg_preload_offset 0
		.amdhsa_user_sgpr_private_segment_size 0
		.amdhsa_uses_dynamic_stack 0
		.amdhsa_system_sgpr_private_segment_wavefront_offset 0
		.amdhsa_system_sgpr_workgroup_id_x 1
		.amdhsa_system_sgpr_workgroup_id_y 0
		.amdhsa_system_sgpr_workgroup_id_z 0
		.amdhsa_system_sgpr_workgroup_info 0
		.amdhsa_system_vgpr_workitem_id 0
		.amdhsa_next_free_vgpr 18
		.amdhsa_next_free_sgpr 7
		.amdhsa_accum_offset 20
		.amdhsa_reserve_vcc 1
		.amdhsa_reserve_flat_scratch 0
		.amdhsa_float_round_mode_32 0
		.amdhsa_float_round_mode_16_64 0
		.amdhsa_float_denorm_mode_32 3
		.amdhsa_float_denorm_mode_16_64 3
		.amdhsa_dx10_clamp 1
		.amdhsa_ieee_mode 1
		.amdhsa_fp16_overflow 0
		.amdhsa_tg_split 0
		.amdhsa_exception_fp_ieee_invalid_op 0
		.amdhsa_exception_fp_denorm_src 0
		.amdhsa_exception_fp_ieee_div_zero 0
		.amdhsa_exception_fp_ieee_overflow 0
		.amdhsa_exception_fp_ieee_underflow 0
		.amdhsa_exception_fp_ieee_inexact 0
		.amdhsa_exception_int_div_zero 0
	.end_amdhsa_kernel
	.section	.text._Z6kernelI23blocked_to_warp_stripedN15benchmark_utils11custom_typeIffEELj256ELj7ELj100EEvPKT0_PKjPS4_,"axG",@progbits,_Z6kernelI23blocked_to_warp_stripedN15benchmark_utils11custom_typeIffEELj256ELj7ELj100EEvPKT0_PKjPS4_,comdat
.Lfunc_end82:
	.size	_Z6kernelI23blocked_to_warp_stripedN15benchmark_utils11custom_typeIffEELj256ELj7ELj100EEvPKT0_PKjPS4_, .Lfunc_end82-_Z6kernelI23blocked_to_warp_stripedN15benchmark_utils11custom_typeIffEELj256ELj7ELj100EEvPKT0_PKjPS4_
                                        ; -- End function
	.section	.AMDGPU.csdata,"",@progbits
; Kernel info:
; codeLenInByte = 336
; NumSgprs: 11
; NumVgprs: 18
; NumAgprs: 0
; TotalNumVgprs: 18
; ScratchSize: 0
; MemoryBound: 0
; FloatMode: 240
; IeeeMode: 1
; LDSByteSize: 14336 bytes/workgroup (compile time only)
; SGPRBlocks: 1
; VGPRBlocks: 2
; NumSGPRsForWavesPerEU: 11
; NumVGPRsForWavesPerEU: 18
; AccumOffset: 20
; Occupancy: 4
; WaveLimiterHint : 1
; COMPUTE_PGM_RSRC2:SCRATCH_EN: 0
; COMPUTE_PGM_RSRC2:USER_SGPR: 6
; COMPUTE_PGM_RSRC2:TRAP_HANDLER: 0
; COMPUTE_PGM_RSRC2:TGID_X_EN: 1
; COMPUTE_PGM_RSRC2:TGID_Y_EN: 0
; COMPUTE_PGM_RSRC2:TGID_Z_EN: 0
; COMPUTE_PGM_RSRC2:TIDIG_COMP_CNT: 0
; COMPUTE_PGM_RSRC3_GFX90A:ACCUM_OFFSET: 4
; COMPUTE_PGM_RSRC3_GFX90A:TG_SPLIT: 0
	.section	.text._Z6kernelI23blocked_to_warp_stripedN15benchmark_utils11custom_typeIffEELj256ELj8ELj100EEvPKT0_PKjPS4_,"axG",@progbits,_Z6kernelI23blocked_to_warp_stripedN15benchmark_utils11custom_typeIffEELj256ELj8ELj100EEvPKT0_PKjPS4_,comdat
	.protected	_Z6kernelI23blocked_to_warp_stripedN15benchmark_utils11custom_typeIffEELj256ELj8ELj100EEvPKT0_PKjPS4_ ; -- Begin function _Z6kernelI23blocked_to_warp_stripedN15benchmark_utils11custom_typeIffEELj256ELj8ELj100EEvPKT0_PKjPS4_
	.globl	_Z6kernelI23blocked_to_warp_stripedN15benchmark_utils11custom_typeIffEELj256ELj8ELj100EEvPKT0_PKjPS4_
	.p2align	8
	.type	_Z6kernelI23blocked_to_warp_stripedN15benchmark_utils11custom_typeIffEELj256ELj8ELj100EEvPKT0_PKjPS4_,@function
_Z6kernelI23blocked_to_warp_stripedN15benchmark_utils11custom_typeIffEELj256ELj8ELj100EEvPKT0_PKjPS4_: ; @_Z6kernelI23blocked_to_warp_stripedN15benchmark_utils11custom_typeIffEELj256ELj8ELj100EEvPKT0_PKjPS4_
; %bb.0:
	s_load_dwordx2 s[2:3], s[4:5], 0x0
	s_lshl_b32 s0, s6, 11
	s_mov_b32 s1, 0
	s_lshl_b64 s[0:1], s[0:1], 3
	v_lshlrev_b32_e32 v1, 6, v0
	s_waitcnt lgkmcnt(0)
	s_add_u32 s2, s2, s0
	s_addc_u32 s3, s3, s1
	global_load_dwordx4 v[2:5], v1, s[2:3] offset:48
	global_load_dwordx4 v[6:9], v1, s[2:3] offset:32
	;; [unrolled: 1-line block ×3, first 2 shown]
	global_load_dwordx4 v[14:17], v1, s[2:3]
	v_mbcnt_lo_u32_b32 v1, -1, 0
	v_lshlrev_b32_e32 v19, 3, v0
	v_mbcnt_hi_u32_b32 v1, -1, v1
	v_and_b32_e32 v0, 0xc0, v0
	v_add_u32_e32 v0, v1, v0
	v_lshlrev_b32_e32 v18, 1, v0
	v_and_b32_e32 v18, 0x3f8, v18
	v_lshl_add_u32 v18, v0, 6, v18
	v_and_b32_e32 v0, 0x600, v19
	v_or_b32_e32 v26, v1, v0
	v_add_u32_e32 v20, 64, v26
	v_or_b32_e32 v21, 0x80, v26
	v_add_u32_e32 v22, 0xc0, v26
	;; [unrolled: 2-line block ×4, first 2 shown]
	v_lshrrev_b32_e32 v19, 5, v26
	v_lshrrev_b32_e32 v20, 5, v20
	;; [unrolled: 1-line block ×8, first 2 shown]
	v_add_lshl_u32 v19, v19, v26, 3
	v_add_lshl_u32 v20, v20, v26, 3
	;; [unrolled: 1-line block ×8, first 2 shown]
	s_movk_i32 s2, 0x64
.LBB83_1:                               ; =>This Inner Loop Header: Depth=1
	s_waitcnt vmcnt(0)
	ds_write2_b64 v18, v[14:15], v[16:17] offset1:1
	ds_write2_b64 v18, v[10:11], v[12:13] offset0:2 offset1:3
	ds_write2_b64 v18, v[6:7], v[8:9] offset0:4 offset1:5
	;; [unrolled: 1-line block ×3, first 2 shown]
	; wave barrier
	ds_read_b64 v[14:15], v19
	ds_read_b64 v[16:17], v20 offset:512
	ds_read_b64 v[10:11], v21 offset:1024
	;; [unrolled: 1-line block ×7, first 2 shown]
	s_add_i32 s2, s2, -1
	s_cmp_lg_u32 s2, 0
	s_waitcnt lgkmcnt(0)
	s_barrier
	s_cbranch_scc1 .LBB83_1
; %bb.2:
	s_load_dwordx2 s[2:3], s[4:5], 0x10
	v_lshlrev_b32_e32 v1, 3, v1
	v_lshlrev_b32_e32 v0, 3, v0
	s_waitcnt lgkmcnt(0)
	s_add_u32 s0, s2, s0
	s_addc_u32 s1, s3, s1
	v_mov_b32_e32 v18, s1
	v_add_co_u32_e32 v1, vcc, s0, v1
	v_addc_co_u32_e32 v18, vcc, 0, v18, vcc
	v_add_co_u32_e32 v0, vcc, v1, v0
	v_addc_co_u32_e32 v1, vcc, 0, v18, vcc
	global_store_dwordx2 v[0:1], v[14:15], off
	global_store_dwordx2 v[0:1], v[16:17], off offset:512
	global_store_dwordx2 v[0:1], v[10:11], off offset:1024
	;; [unrolled: 1-line block ×7, first 2 shown]
	s_endpgm
	.section	.rodata,"a",@progbits
	.p2align	6, 0x0
	.amdhsa_kernel _Z6kernelI23blocked_to_warp_stripedN15benchmark_utils11custom_typeIffEELj256ELj8ELj100EEvPKT0_PKjPS4_
		.amdhsa_group_segment_fixed_size 16896
		.amdhsa_private_segment_fixed_size 0
		.amdhsa_kernarg_size 24
		.amdhsa_user_sgpr_count 6
		.amdhsa_user_sgpr_private_segment_buffer 1
		.amdhsa_user_sgpr_dispatch_ptr 0
		.amdhsa_user_sgpr_queue_ptr 0
		.amdhsa_user_sgpr_kernarg_segment_ptr 1
		.amdhsa_user_sgpr_dispatch_id 0
		.amdhsa_user_sgpr_flat_scratch_init 0
		.amdhsa_user_sgpr_kernarg_preload_length 0
		.amdhsa_user_sgpr_kernarg_preload_offset 0
		.amdhsa_user_sgpr_private_segment_size 0
		.amdhsa_uses_dynamic_stack 0
		.amdhsa_system_sgpr_private_segment_wavefront_offset 0
		.amdhsa_system_sgpr_workgroup_id_x 1
		.amdhsa_system_sgpr_workgroup_id_y 0
		.amdhsa_system_sgpr_workgroup_id_z 0
		.amdhsa_system_sgpr_workgroup_info 0
		.amdhsa_system_vgpr_workitem_id 0
		.amdhsa_next_free_vgpr 28
		.amdhsa_next_free_sgpr 7
		.amdhsa_accum_offset 28
		.amdhsa_reserve_vcc 1
		.amdhsa_reserve_flat_scratch 0
		.amdhsa_float_round_mode_32 0
		.amdhsa_float_round_mode_16_64 0
		.amdhsa_float_denorm_mode_32 3
		.amdhsa_float_denorm_mode_16_64 3
		.amdhsa_dx10_clamp 1
		.amdhsa_ieee_mode 1
		.amdhsa_fp16_overflow 0
		.amdhsa_tg_split 0
		.amdhsa_exception_fp_ieee_invalid_op 0
		.amdhsa_exception_fp_denorm_src 0
		.amdhsa_exception_fp_ieee_div_zero 0
		.amdhsa_exception_fp_ieee_overflow 0
		.amdhsa_exception_fp_ieee_underflow 0
		.amdhsa_exception_fp_ieee_inexact 0
		.amdhsa_exception_int_div_zero 0
	.end_amdhsa_kernel
	.section	.text._Z6kernelI23blocked_to_warp_stripedN15benchmark_utils11custom_typeIffEELj256ELj8ELj100EEvPKT0_PKjPS4_,"axG",@progbits,_Z6kernelI23blocked_to_warp_stripedN15benchmark_utils11custom_typeIffEELj256ELj8ELj100EEvPKT0_PKjPS4_,comdat
.Lfunc_end83:
	.size	_Z6kernelI23blocked_to_warp_stripedN15benchmark_utils11custom_typeIffEELj256ELj8ELj100EEvPKT0_PKjPS4_, .Lfunc_end83-_Z6kernelI23blocked_to_warp_stripedN15benchmark_utils11custom_typeIffEELj256ELj8ELj100EEvPKT0_PKjPS4_
                                        ; -- End function
	.section	.AMDGPU.csdata,"",@progbits
; Kernel info:
; codeLenInByte = 520
; NumSgprs: 11
; NumVgprs: 28
; NumAgprs: 0
; TotalNumVgprs: 28
; ScratchSize: 0
; MemoryBound: 0
; FloatMode: 240
; IeeeMode: 1
; LDSByteSize: 16896 bytes/workgroup (compile time only)
; SGPRBlocks: 1
; VGPRBlocks: 3
; NumSGPRsForWavesPerEU: 11
; NumVGPRsForWavesPerEU: 28
; AccumOffset: 28
; Occupancy: 3
; WaveLimiterHint : 1
; COMPUTE_PGM_RSRC2:SCRATCH_EN: 0
; COMPUTE_PGM_RSRC2:USER_SGPR: 6
; COMPUTE_PGM_RSRC2:TRAP_HANDLER: 0
; COMPUTE_PGM_RSRC2:TGID_X_EN: 1
; COMPUTE_PGM_RSRC2:TGID_Y_EN: 0
; COMPUTE_PGM_RSRC2:TGID_Z_EN: 0
; COMPUTE_PGM_RSRC2:TIDIG_COMP_CNT: 0
; COMPUTE_PGM_RSRC3_GFX90A:ACCUM_OFFSET: 6
; COMPUTE_PGM_RSRC3_GFX90A:TG_SPLIT: 0
	.section	.text._Z6kernelI23blocked_to_warp_stripedN15benchmark_utils11custom_typeIddEELj256ELj1ELj100EEvPKT0_PKjPS4_,"axG",@progbits,_Z6kernelI23blocked_to_warp_stripedN15benchmark_utils11custom_typeIddEELj256ELj1ELj100EEvPKT0_PKjPS4_,comdat
	.protected	_Z6kernelI23blocked_to_warp_stripedN15benchmark_utils11custom_typeIddEELj256ELj1ELj100EEvPKT0_PKjPS4_ ; -- Begin function _Z6kernelI23blocked_to_warp_stripedN15benchmark_utils11custom_typeIddEELj256ELj1ELj100EEvPKT0_PKjPS4_
	.globl	_Z6kernelI23blocked_to_warp_stripedN15benchmark_utils11custom_typeIddEELj256ELj1ELj100EEvPKT0_PKjPS4_
	.p2align	8
	.type	_Z6kernelI23blocked_to_warp_stripedN15benchmark_utils11custom_typeIddEELj256ELj1ELj100EEvPKT0_PKjPS4_,@function
_Z6kernelI23blocked_to_warp_stripedN15benchmark_utils11custom_typeIddEELj256ELj1ELj100EEvPKT0_PKjPS4_: ; @_Z6kernelI23blocked_to_warp_stripedN15benchmark_utils11custom_typeIddEELj256ELj1ELj100EEvPKT0_PKjPS4_
; %bb.0:
	s_load_dwordx2 s[2:3], s[4:5], 0x0
	s_lshl_b32 s0, s6, 8
	s_mov_b32 s1, 0
	s_lshl_b64 s[0:1], s[0:1], 4
	v_lshlrev_b32_e32 v1, 4, v0
	s_waitcnt lgkmcnt(0)
	s_add_u32 s2, s2, s0
	s_addc_u32 s3, s3, s1
	global_load_dwordx4 v[2:5], v1, s[2:3]
	v_mbcnt_lo_u32_b32 v1, -1, 0
	v_and_b32_e32 v0, 0xc0, v0
	v_mbcnt_hi_u32_b32 v1, -1, v1
	v_lshlrev_b32_e32 v0, 4, v0
	v_lshl_add_u32 v6, v1, 4, v0
	s_movk_i32 s2, 0x64
.LBB84_1:                               ; =>This Inner Loop Header: Depth=1
	s_waitcnt vmcnt(0)
	ds_write_b128 v6, v[2:5]
	; wave barrier
	ds_read_b128 v[2:5], v6
	s_add_i32 s2, s2, -1
	s_cmp_lg_u32 s2, 0
	s_waitcnt lgkmcnt(0)
	s_barrier
	s_cbranch_scc1 .LBB84_1
; %bb.2:
	s_load_dwordx2 s[2:3], s[4:5], 0x10
	v_lshlrev_b32_e32 v1, 4, v1
	s_waitcnt lgkmcnt(0)
	s_add_u32 s0, s2, s0
	s_addc_u32 s1, s3, s1
	v_mov_b32_e32 v6, s1
	v_add_co_u32_e32 v1, vcc, s0, v1
	v_addc_co_u32_e32 v6, vcc, 0, v6, vcc
	v_add_co_u32_e32 v0, vcc, v1, v0
	v_addc_co_u32_e32 v1, vcc, 0, v6, vcc
	global_store_dwordx4 v[0:1], v[2:5], off
	s_endpgm
	.section	.rodata,"a",@progbits
	.p2align	6, 0x0
	.amdhsa_kernel _Z6kernelI23blocked_to_warp_stripedN15benchmark_utils11custom_typeIddEELj256ELj1ELj100EEvPKT0_PKjPS4_
		.amdhsa_group_segment_fixed_size 4096
		.amdhsa_private_segment_fixed_size 0
		.amdhsa_kernarg_size 24
		.amdhsa_user_sgpr_count 6
		.amdhsa_user_sgpr_private_segment_buffer 1
		.amdhsa_user_sgpr_dispatch_ptr 0
		.amdhsa_user_sgpr_queue_ptr 0
		.amdhsa_user_sgpr_kernarg_segment_ptr 1
		.amdhsa_user_sgpr_dispatch_id 0
		.amdhsa_user_sgpr_flat_scratch_init 0
		.amdhsa_user_sgpr_kernarg_preload_length 0
		.amdhsa_user_sgpr_kernarg_preload_offset 0
		.amdhsa_user_sgpr_private_segment_size 0
		.amdhsa_uses_dynamic_stack 0
		.amdhsa_system_sgpr_private_segment_wavefront_offset 0
		.amdhsa_system_sgpr_workgroup_id_x 1
		.amdhsa_system_sgpr_workgroup_id_y 0
		.amdhsa_system_sgpr_workgroup_id_z 0
		.amdhsa_system_sgpr_workgroup_info 0
		.amdhsa_system_vgpr_workitem_id 0
		.amdhsa_next_free_vgpr 7
		.amdhsa_next_free_sgpr 7
		.amdhsa_accum_offset 8
		.amdhsa_reserve_vcc 1
		.amdhsa_reserve_flat_scratch 0
		.amdhsa_float_round_mode_32 0
		.amdhsa_float_round_mode_16_64 0
		.amdhsa_float_denorm_mode_32 3
		.amdhsa_float_denorm_mode_16_64 3
		.amdhsa_dx10_clamp 1
		.amdhsa_ieee_mode 1
		.amdhsa_fp16_overflow 0
		.amdhsa_tg_split 0
		.amdhsa_exception_fp_ieee_invalid_op 0
		.amdhsa_exception_fp_denorm_src 0
		.amdhsa_exception_fp_ieee_div_zero 0
		.amdhsa_exception_fp_ieee_overflow 0
		.amdhsa_exception_fp_ieee_underflow 0
		.amdhsa_exception_fp_ieee_inexact 0
		.amdhsa_exception_int_div_zero 0
	.end_amdhsa_kernel
	.section	.text._Z6kernelI23blocked_to_warp_stripedN15benchmark_utils11custom_typeIddEELj256ELj1ELj100EEvPKT0_PKjPS4_,"axG",@progbits,_Z6kernelI23blocked_to_warp_stripedN15benchmark_utils11custom_typeIddEELj256ELj1ELj100EEvPKT0_PKjPS4_,comdat
.Lfunc_end84:
	.size	_Z6kernelI23blocked_to_warp_stripedN15benchmark_utils11custom_typeIddEELj256ELj1ELj100EEvPKT0_PKjPS4_, .Lfunc_end84-_Z6kernelI23blocked_to_warp_stripedN15benchmark_utils11custom_typeIddEELj256ELj1ELj100EEvPKT0_PKjPS4_
                                        ; -- End function
	.section	.AMDGPU.csdata,"",@progbits
; Kernel info:
; codeLenInByte = 180
; NumSgprs: 11
; NumVgprs: 7
; NumAgprs: 0
; TotalNumVgprs: 7
; ScratchSize: 0
; MemoryBound: 0
; FloatMode: 240
; IeeeMode: 1
; LDSByteSize: 4096 bytes/workgroup (compile time only)
; SGPRBlocks: 1
; VGPRBlocks: 0
; NumSGPRsForWavesPerEU: 11
; NumVGPRsForWavesPerEU: 7
; AccumOffset: 8
; Occupancy: 8
; WaveLimiterHint : 0
; COMPUTE_PGM_RSRC2:SCRATCH_EN: 0
; COMPUTE_PGM_RSRC2:USER_SGPR: 6
; COMPUTE_PGM_RSRC2:TRAP_HANDLER: 0
; COMPUTE_PGM_RSRC2:TGID_X_EN: 1
; COMPUTE_PGM_RSRC2:TGID_Y_EN: 0
; COMPUTE_PGM_RSRC2:TGID_Z_EN: 0
; COMPUTE_PGM_RSRC2:TIDIG_COMP_CNT: 0
; COMPUTE_PGM_RSRC3_GFX90A:ACCUM_OFFSET: 1
; COMPUTE_PGM_RSRC3_GFX90A:TG_SPLIT: 0
	.section	.text._Z6kernelI23blocked_to_warp_stripedN15benchmark_utils11custom_typeIddEELj256ELj2ELj100EEvPKT0_PKjPS4_,"axG",@progbits,_Z6kernelI23blocked_to_warp_stripedN15benchmark_utils11custom_typeIddEELj256ELj2ELj100EEvPKT0_PKjPS4_,comdat
	.protected	_Z6kernelI23blocked_to_warp_stripedN15benchmark_utils11custom_typeIddEELj256ELj2ELj100EEvPKT0_PKjPS4_ ; -- Begin function _Z6kernelI23blocked_to_warp_stripedN15benchmark_utils11custom_typeIddEELj256ELj2ELj100EEvPKT0_PKjPS4_
	.globl	_Z6kernelI23blocked_to_warp_stripedN15benchmark_utils11custom_typeIddEELj256ELj2ELj100EEvPKT0_PKjPS4_
	.p2align	8
	.type	_Z6kernelI23blocked_to_warp_stripedN15benchmark_utils11custom_typeIddEELj256ELj2ELj100EEvPKT0_PKjPS4_,@function
_Z6kernelI23blocked_to_warp_stripedN15benchmark_utils11custom_typeIddEELj256ELj2ELj100EEvPKT0_PKjPS4_: ; @_Z6kernelI23blocked_to_warp_stripedN15benchmark_utils11custom_typeIddEELj256ELj2ELj100EEvPKT0_PKjPS4_
; %bb.0:
	s_load_dwordx2 s[2:3], s[4:5], 0x0
	s_lshl_b32 s0, s6, 9
	s_mov_b32 s1, 0
	s_lshl_b64 s[0:1], s[0:1], 4
	v_lshlrev_b32_e32 v1, 5, v0
	s_waitcnt lgkmcnt(0)
	s_add_u32 s2, s2, s0
	s_addc_u32 s3, s3, s1
	global_load_dwordx4 v[2:5], v1, s[2:3] offset:16
	global_load_dwordx4 v[6:9], v1, s[2:3]
	v_mbcnt_lo_u32_b32 v1, -1, 0
	v_lshlrev_b32_e32 v11, 1, v0
	v_mbcnt_hi_u32_b32 v1, -1, v1
	v_and_b32_e32 v0, 0xc0, v0
	v_add_u32_e32 v0, v1, v0
	v_and_b32_e32 v10, 0x1f0, v0
	v_lshl_add_u32 v10, v0, 5, v10
	v_and_b32_e32 v0, 0x180, v11
	v_or_b32_e32 v12, v1, v0
	v_add_u32_e32 v13, 64, v12
	v_lshrrev_b32_e32 v11, 5, v12
	v_lshrrev_b32_e32 v13, 5, v13
	v_add_lshl_u32 v11, v11, v12, 4
	v_add_lshl_u32 v12, v13, v12, 4
	s_movk_i32 s2, 0x64
.LBB85_1:                               ; =>This Inner Loop Header: Depth=1
	s_waitcnt vmcnt(0)
	ds_write_b128 v10, v[6:9]
	ds_write_b128 v10, v[2:5] offset:16
	; wave barrier
	ds_read_b128 v[6:9], v11
	ds_read_b128 v[2:5], v12 offset:1024
	s_add_i32 s2, s2, -1
	s_cmp_lg_u32 s2, 0
	s_waitcnt lgkmcnt(0)
	s_barrier
	s_cbranch_scc1 .LBB85_1
; %bb.2:
	s_load_dwordx2 s[2:3], s[4:5], 0x10
	v_lshlrev_b32_e32 v1, 4, v1
	v_lshlrev_b32_e32 v0, 4, v0
	s_waitcnt lgkmcnt(0)
	s_add_u32 s0, s2, s0
	s_addc_u32 s1, s3, s1
	v_mov_b32_e32 v10, s1
	v_add_co_u32_e32 v1, vcc, s0, v1
	v_addc_co_u32_e32 v10, vcc, 0, v10, vcc
	v_add_co_u32_e32 v0, vcc, v1, v0
	v_addc_co_u32_e32 v1, vcc, 0, v10, vcc
	global_store_dwordx4 v[0:1], v[6:9], off
	global_store_dwordx4 v[0:1], v[2:5], off offset:1024
	s_endpgm
	.section	.rodata,"a",@progbits
	.p2align	6, 0x0
	.amdhsa_kernel _Z6kernelI23blocked_to_warp_stripedN15benchmark_utils11custom_typeIddEELj256ELj2ELj100EEvPKT0_PKjPS4_
		.amdhsa_group_segment_fixed_size 8448
		.amdhsa_private_segment_fixed_size 0
		.amdhsa_kernarg_size 24
		.amdhsa_user_sgpr_count 6
		.amdhsa_user_sgpr_private_segment_buffer 1
		.amdhsa_user_sgpr_dispatch_ptr 0
		.amdhsa_user_sgpr_queue_ptr 0
		.amdhsa_user_sgpr_kernarg_segment_ptr 1
		.amdhsa_user_sgpr_dispatch_id 0
		.amdhsa_user_sgpr_flat_scratch_init 0
		.amdhsa_user_sgpr_kernarg_preload_length 0
		.amdhsa_user_sgpr_kernarg_preload_offset 0
		.amdhsa_user_sgpr_private_segment_size 0
		.amdhsa_uses_dynamic_stack 0
		.amdhsa_system_sgpr_private_segment_wavefront_offset 0
		.amdhsa_system_sgpr_workgroup_id_x 1
		.amdhsa_system_sgpr_workgroup_id_y 0
		.amdhsa_system_sgpr_workgroup_id_z 0
		.amdhsa_system_sgpr_workgroup_info 0
		.amdhsa_system_vgpr_workitem_id 0
		.amdhsa_next_free_vgpr 14
		.amdhsa_next_free_sgpr 7
		.amdhsa_accum_offset 16
		.amdhsa_reserve_vcc 1
		.amdhsa_reserve_flat_scratch 0
		.amdhsa_float_round_mode_32 0
		.amdhsa_float_round_mode_16_64 0
		.amdhsa_float_denorm_mode_32 3
		.amdhsa_float_denorm_mode_16_64 3
		.amdhsa_dx10_clamp 1
		.amdhsa_ieee_mode 1
		.amdhsa_fp16_overflow 0
		.amdhsa_tg_split 0
		.amdhsa_exception_fp_ieee_invalid_op 0
		.amdhsa_exception_fp_denorm_src 0
		.amdhsa_exception_fp_ieee_div_zero 0
		.amdhsa_exception_fp_ieee_overflow 0
		.amdhsa_exception_fp_ieee_underflow 0
		.amdhsa_exception_fp_ieee_inexact 0
		.amdhsa_exception_int_div_zero 0
	.end_amdhsa_kernel
	.section	.text._Z6kernelI23blocked_to_warp_stripedN15benchmark_utils11custom_typeIddEELj256ELj2ELj100EEvPKT0_PKjPS4_,"axG",@progbits,_Z6kernelI23blocked_to_warp_stripedN15benchmark_utils11custom_typeIddEELj256ELj2ELj100EEvPKT0_PKjPS4_,comdat
.Lfunc_end85:
	.size	_Z6kernelI23blocked_to_warp_stripedN15benchmark_utils11custom_typeIddEELj256ELj2ELj100EEvPKT0_PKjPS4_, .Lfunc_end85-_Z6kernelI23blocked_to_warp_stripedN15benchmark_utils11custom_typeIddEELj256ELj2ELj100EEvPKT0_PKjPS4_
                                        ; -- End function
	.section	.AMDGPU.csdata,"",@progbits
; Kernel info:
; codeLenInByte = 268
; NumSgprs: 11
; NumVgprs: 14
; NumAgprs: 0
; TotalNumVgprs: 14
; ScratchSize: 0
; MemoryBound: 0
; FloatMode: 240
; IeeeMode: 1
; LDSByteSize: 8448 bytes/workgroup (compile time only)
; SGPRBlocks: 1
; VGPRBlocks: 1
; NumSGPRsForWavesPerEU: 11
; NumVGPRsForWavesPerEU: 14
; AccumOffset: 16
; Occupancy: 7
; WaveLimiterHint : 1
; COMPUTE_PGM_RSRC2:SCRATCH_EN: 0
; COMPUTE_PGM_RSRC2:USER_SGPR: 6
; COMPUTE_PGM_RSRC2:TRAP_HANDLER: 0
; COMPUTE_PGM_RSRC2:TGID_X_EN: 1
; COMPUTE_PGM_RSRC2:TGID_Y_EN: 0
; COMPUTE_PGM_RSRC2:TGID_Z_EN: 0
; COMPUTE_PGM_RSRC2:TIDIG_COMP_CNT: 0
; COMPUTE_PGM_RSRC3_GFX90A:ACCUM_OFFSET: 3
; COMPUTE_PGM_RSRC3_GFX90A:TG_SPLIT: 0
	.section	.text._Z6kernelI23blocked_to_warp_stripedN15benchmark_utils11custom_typeIddEELj256ELj3ELj100EEvPKT0_PKjPS4_,"axG",@progbits,_Z6kernelI23blocked_to_warp_stripedN15benchmark_utils11custom_typeIddEELj256ELj3ELj100EEvPKT0_PKjPS4_,comdat
	.protected	_Z6kernelI23blocked_to_warp_stripedN15benchmark_utils11custom_typeIddEELj256ELj3ELj100EEvPKT0_PKjPS4_ ; -- Begin function _Z6kernelI23blocked_to_warp_stripedN15benchmark_utils11custom_typeIddEELj256ELj3ELj100EEvPKT0_PKjPS4_
	.globl	_Z6kernelI23blocked_to_warp_stripedN15benchmark_utils11custom_typeIddEELj256ELj3ELj100EEvPKT0_PKjPS4_
	.p2align	8
	.type	_Z6kernelI23blocked_to_warp_stripedN15benchmark_utils11custom_typeIddEELj256ELj3ELj100EEvPKT0_PKjPS4_,@function
_Z6kernelI23blocked_to_warp_stripedN15benchmark_utils11custom_typeIddEELj256ELj3ELj100EEvPKT0_PKjPS4_: ; @_Z6kernelI23blocked_to_warp_stripedN15benchmark_utils11custom_typeIddEELj256ELj3ELj100EEvPKT0_PKjPS4_
; %bb.0:
	s_load_dwordx2 s[2:3], s[4:5], 0x0
	s_mul_i32 s0, s6, 0x300
	s_mov_b32 s1, 0
	s_lshl_b64 s[0:1], s[0:1], 4
	v_mul_u32_u24_e32 v1, 3, v0
	s_waitcnt lgkmcnt(0)
	s_add_u32 s2, s2, s0
	s_addc_u32 s3, s3, s1
	v_lshlrev_b32_e32 v1, 4, v1
	global_load_dwordx4 v[2:5], v1, s[2:3] offset:32
	global_load_dwordx4 v[6:9], v1, s[2:3] offset:16
	global_load_dwordx4 v[10:13], v1, s[2:3]
	v_lshrrev_b32_e32 v14, 6, v0
	v_mbcnt_lo_u32_b32 v1, -1, 0
	v_mul_u32_u24_e32 v15, 0xc0, v14
	v_mbcnt_hi_u32_b32 v1, -1, v1
	v_lshlrev_b32_e32 v14, 4, v15
	v_mad_u32_u24 v14, v1, 48, v14
	v_add_lshl_u32 v15, v1, v15, 4
	s_movk_i32 s2, 0x64
.LBB86_1:                               ; =>This Inner Loop Header: Depth=1
	s_waitcnt vmcnt(0)
	ds_write_b128 v14, v[10:13]
	ds_write_b128 v14, v[6:9] offset:16
	ds_write_b128 v14, v[2:5] offset:32
	; wave barrier
	ds_read_b128 v[10:13], v15
	ds_read_b128 v[6:9], v15 offset:1024
	ds_read_b128 v[2:5], v15 offset:2048
	s_add_i32 s2, s2, -1
	s_cmp_lg_u32 s2, 0
	s_waitcnt lgkmcnt(0)
	s_barrier
	s_cbranch_scc1 .LBB86_1
; %bb.2:
	s_load_dwordx2 s[2:3], s[4:5], 0x10
	v_and_b32_e32 v0, 0xc0, v0
	v_lshlrev_b32_e32 v1, 4, v1
	v_mul_u32_u24_e32 v0, 3, v0
	v_lshlrev_b32_e32 v0, 4, v0
	s_waitcnt lgkmcnt(0)
	s_add_u32 s0, s2, s0
	s_addc_u32 s1, s3, s1
	v_mov_b32_e32 v14, s1
	v_add_co_u32_e32 v1, vcc, s0, v1
	v_addc_co_u32_e32 v14, vcc, 0, v14, vcc
	v_add_co_u32_e32 v0, vcc, v1, v0
	v_addc_co_u32_e32 v1, vcc, 0, v14, vcc
	global_store_dwordx4 v[0:1], v[10:13], off
	global_store_dwordx4 v[0:1], v[6:9], off offset:1024
	global_store_dwordx4 v[0:1], v[2:5], off offset:2048
	s_endpgm
	.section	.rodata,"a",@progbits
	.p2align	6, 0x0
	.amdhsa_kernel _Z6kernelI23blocked_to_warp_stripedN15benchmark_utils11custom_typeIddEELj256ELj3ELj100EEvPKT0_PKjPS4_
		.amdhsa_group_segment_fixed_size 12288
		.amdhsa_private_segment_fixed_size 0
		.amdhsa_kernarg_size 24
		.amdhsa_user_sgpr_count 6
		.amdhsa_user_sgpr_private_segment_buffer 1
		.amdhsa_user_sgpr_dispatch_ptr 0
		.amdhsa_user_sgpr_queue_ptr 0
		.amdhsa_user_sgpr_kernarg_segment_ptr 1
		.amdhsa_user_sgpr_dispatch_id 0
		.amdhsa_user_sgpr_flat_scratch_init 0
		.amdhsa_user_sgpr_kernarg_preload_length 0
		.amdhsa_user_sgpr_kernarg_preload_offset 0
		.amdhsa_user_sgpr_private_segment_size 0
		.amdhsa_uses_dynamic_stack 0
		.amdhsa_system_sgpr_private_segment_wavefront_offset 0
		.amdhsa_system_sgpr_workgroup_id_x 1
		.amdhsa_system_sgpr_workgroup_id_y 0
		.amdhsa_system_sgpr_workgroup_id_z 0
		.amdhsa_system_sgpr_workgroup_info 0
		.amdhsa_system_vgpr_workitem_id 0
		.amdhsa_next_free_vgpr 16
		.amdhsa_next_free_sgpr 7
		.amdhsa_accum_offset 16
		.amdhsa_reserve_vcc 1
		.amdhsa_reserve_flat_scratch 0
		.amdhsa_float_round_mode_32 0
		.amdhsa_float_round_mode_16_64 0
		.amdhsa_float_denorm_mode_32 3
		.amdhsa_float_denorm_mode_16_64 3
		.amdhsa_dx10_clamp 1
		.amdhsa_ieee_mode 1
		.amdhsa_fp16_overflow 0
		.amdhsa_tg_split 0
		.amdhsa_exception_fp_ieee_invalid_op 0
		.amdhsa_exception_fp_denorm_src 0
		.amdhsa_exception_fp_ieee_div_zero 0
		.amdhsa_exception_fp_ieee_overflow 0
		.amdhsa_exception_fp_ieee_underflow 0
		.amdhsa_exception_fp_ieee_inexact 0
		.amdhsa_exception_int_div_zero 0
	.end_amdhsa_kernel
	.section	.text._Z6kernelI23blocked_to_warp_stripedN15benchmark_utils11custom_typeIddEELj256ELj3ELj100EEvPKT0_PKjPS4_,"axG",@progbits,_Z6kernelI23blocked_to_warp_stripedN15benchmark_utils11custom_typeIddEELj256ELj3ELj100EEvPKT0_PKjPS4_,comdat
.Lfunc_end86:
	.size	_Z6kernelI23blocked_to_warp_stripedN15benchmark_utils11custom_typeIddEELj256ELj3ELj100EEvPKT0_PKjPS4_, .Lfunc_end86-_Z6kernelI23blocked_to_warp_stripedN15benchmark_utils11custom_typeIddEELj256ELj3ELj100EEvPKT0_PKjPS4_
                                        ; -- End function
	.section	.AMDGPU.csdata,"",@progbits
; Kernel info:
; codeLenInByte = 280
; NumSgprs: 11
; NumVgprs: 16
; NumAgprs: 0
; TotalNumVgprs: 16
; ScratchSize: 0
; MemoryBound: 0
; FloatMode: 240
; IeeeMode: 1
; LDSByteSize: 12288 bytes/workgroup (compile time only)
; SGPRBlocks: 1
; VGPRBlocks: 1
; NumSGPRsForWavesPerEU: 11
; NumVGPRsForWavesPerEU: 16
; AccumOffset: 16
; Occupancy: 5
; WaveLimiterHint : 1
; COMPUTE_PGM_RSRC2:SCRATCH_EN: 0
; COMPUTE_PGM_RSRC2:USER_SGPR: 6
; COMPUTE_PGM_RSRC2:TRAP_HANDLER: 0
; COMPUTE_PGM_RSRC2:TGID_X_EN: 1
; COMPUTE_PGM_RSRC2:TGID_Y_EN: 0
; COMPUTE_PGM_RSRC2:TGID_Z_EN: 0
; COMPUTE_PGM_RSRC2:TIDIG_COMP_CNT: 0
; COMPUTE_PGM_RSRC3_GFX90A:ACCUM_OFFSET: 3
; COMPUTE_PGM_RSRC3_GFX90A:TG_SPLIT: 0
	.section	.text._Z6kernelI23blocked_to_warp_stripedN15benchmark_utils11custom_typeIddEELj256ELj4ELj100EEvPKT0_PKjPS4_,"axG",@progbits,_Z6kernelI23blocked_to_warp_stripedN15benchmark_utils11custom_typeIddEELj256ELj4ELj100EEvPKT0_PKjPS4_,comdat
	.protected	_Z6kernelI23blocked_to_warp_stripedN15benchmark_utils11custom_typeIddEELj256ELj4ELj100EEvPKT0_PKjPS4_ ; -- Begin function _Z6kernelI23blocked_to_warp_stripedN15benchmark_utils11custom_typeIddEELj256ELj4ELj100EEvPKT0_PKjPS4_
	.globl	_Z6kernelI23blocked_to_warp_stripedN15benchmark_utils11custom_typeIddEELj256ELj4ELj100EEvPKT0_PKjPS4_
	.p2align	8
	.type	_Z6kernelI23blocked_to_warp_stripedN15benchmark_utils11custom_typeIddEELj256ELj4ELj100EEvPKT0_PKjPS4_,@function
_Z6kernelI23blocked_to_warp_stripedN15benchmark_utils11custom_typeIddEELj256ELj4ELj100EEvPKT0_PKjPS4_: ; @_Z6kernelI23blocked_to_warp_stripedN15benchmark_utils11custom_typeIddEELj256ELj4ELj100EEvPKT0_PKjPS4_
; %bb.0:
	s_load_dwordx2 s[2:3], s[4:5], 0x0
	s_lshl_b32 s0, s6, 10
	s_mov_b32 s1, 0
	s_lshl_b64 s[0:1], s[0:1], 4
	v_lshlrev_b32_e32 v1, 6, v0
	s_waitcnt lgkmcnt(0)
	s_add_u32 s2, s2, s0
	s_addc_u32 s3, s3, s1
	global_load_dwordx4 v[2:5], v1, s[2:3] offset:48
	global_load_dwordx4 v[6:9], v1, s[2:3] offset:32
	;; [unrolled: 1-line block ×3, first 2 shown]
	global_load_dwordx4 v[14:17], v1, s[2:3]
	v_mbcnt_lo_u32_b32 v1, -1, 0
	v_lshlrev_b32_e32 v19, 2, v0
	v_mbcnt_hi_u32_b32 v1, -1, v1
	v_and_b32_e32 v0, 0xc0, v0
	v_add_u32_e32 v0, v1, v0
	v_lshlrev_b32_e32 v18, 1, v0
	v_and_b32_e32 v18, 0x3f0, v18
	v_lshl_add_u32 v18, v0, 6, v18
	v_and_b32_e32 v0, 0x300, v19
	v_or_b32_e32 v22, v1, v0
	v_add_u32_e32 v20, 64, v22
	v_or_b32_e32 v21, 0x80, v22
	v_add_u32_e32 v23, 0xc0, v22
	v_lshrrev_b32_e32 v19, 5, v22
	v_lshrrev_b32_e32 v20, 5, v20
	;; [unrolled: 1-line block ×4, first 2 shown]
	v_add_lshl_u32 v19, v19, v22, 4
	v_add_lshl_u32 v20, v20, v22, 4
	;; [unrolled: 1-line block ×4, first 2 shown]
	s_movk_i32 s2, 0x64
.LBB87_1:                               ; =>This Inner Loop Header: Depth=1
	s_waitcnt vmcnt(0)
	ds_write_b128 v18, v[14:17]
	ds_write_b128 v18, v[10:13] offset:16
	ds_write_b128 v18, v[6:9] offset:32
	;; [unrolled: 1-line block ×3, first 2 shown]
	; wave barrier
	ds_read_b128 v[14:17], v19
	ds_read_b128 v[10:13], v20 offset:1024
	ds_read_b128 v[6:9], v21 offset:2048
	;; [unrolled: 1-line block ×3, first 2 shown]
	s_add_i32 s2, s2, -1
	s_cmp_lg_u32 s2, 0
	s_waitcnt lgkmcnt(0)
	s_barrier
	s_cbranch_scc1 .LBB87_1
; %bb.2:
	s_load_dwordx2 s[2:3], s[4:5], 0x10
	v_lshlrev_b32_e32 v1, 4, v1
	v_lshlrev_b32_e32 v0, 4, v0
	s_waitcnt lgkmcnt(0)
	s_add_u32 s0, s2, s0
	s_addc_u32 s1, s3, s1
	v_mov_b32_e32 v18, s1
	v_add_co_u32_e32 v1, vcc, s0, v1
	v_addc_co_u32_e32 v18, vcc, 0, v18, vcc
	v_add_co_u32_e32 v0, vcc, v1, v0
	v_addc_co_u32_e32 v1, vcc, 0, v18, vcc
	global_store_dwordx4 v[0:1], v[14:17], off
	global_store_dwordx4 v[0:1], v[10:13], off offset:1024
	global_store_dwordx4 v[0:1], v[6:9], off offset:2048
	;; [unrolled: 1-line block ×3, first 2 shown]
	s_endpgm
	.section	.rodata,"a",@progbits
	.p2align	6, 0x0
	.amdhsa_kernel _Z6kernelI23blocked_to_warp_stripedN15benchmark_utils11custom_typeIddEELj256ELj4ELj100EEvPKT0_PKjPS4_
		.amdhsa_group_segment_fixed_size 16896
		.amdhsa_private_segment_fixed_size 0
		.amdhsa_kernarg_size 24
		.amdhsa_user_sgpr_count 6
		.amdhsa_user_sgpr_private_segment_buffer 1
		.amdhsa_user_sgpr_dispatch_ptr 0
		.amdhsa_user_sgpr_queue_ptr 0
		.amdhsa_user_sgpr_kernarg_segment_ptr 1
		.amdhsa_user_sgpr_dispatch_id 0
		.amdhsa_user_sgpr_flat_scratch_init 0
		.amdhsa_user_sgpr_kernarg_preload_length 0
		.amdhsa_user_sgpr_kernarg_preload_offset 0
		.amdhsa_user_sgpr_private_segment_size 0
		.amdhsa_uses_dynamic_stack 0
		.amdhsa_system_sgpr_private_segment_wavefront_offset 0
		.amdhsa_system_sgpr_workgroup_id_x 1
		.amdhsa_system_sgpr_workgroup_id_y 0
		.amdhsa_system_sgpr_workgroup_id_z 0
		.amdhsa_system_sgpr_workgroup_info 0
		.amdhsa_system_vgpr_workitem_id 0
		.amdhsa_next_free_vgpr 24
		.amdhsa_next_free_sgpr 7
		.amdhsa_accum_offset 24
		.amdhsa_reserve_vcc 1
		.amdhsa_reserve_flat_scratch 0
		.amdhsa_float_round_mode_32 0
		.amdhsa_float_round_mode_16_64 0
		.amdhsa_float_denorm_mode_32 3
		.amdhsa_float_denorm_mode_16_64 3
		.amdhsa_dx10_clamp 1
		.amdhsa_ieee_mode 1
		.amdhsa_fp16_overflow 0
		.amdhsa_tg_split 0
		.amdhsa_exception_fp_ieee_invalid_op 0
		.amdhsa_exception_fp_denorm_src 0
		.amdhsa_exception_fp_ieee_div_zero 0
		.amdhsa_exception_fp_ieee_overflow 0
		.amdhsa_exception_fp_ieee_underflow 0
		.amdhsa_exception_fp_ieee_inexact 0
		.amdhsa_exception_int_div_zero 0
	.end_amdhsa_kernel
	.section	.text._Z6kernelI23blocked_to_warp_stripedN15benchmark_utils11custom_typeIddEELj256ELj4ELj100EEvPKT0_PKjPS4_,"axG",@progbits,_Z6kernelI23blocked_to_warp_stripedN15benchmark_utils11custom_typeIddEELj256ELj4ELj100EEvPKT0_PKjPS4_,comdat
.Lfunc_end87:
	.size	_Z6kernelI23blocked_to_warp_stripedN15benchmark_utils11custom_typeIddEELj256ELj4ELj100EEvPKT0_PKjPS4_, .Lfunc_end87-_Z6kernelI23blocked_to_warp_stripedN15benchmark_utils11custom_typeIddEELj256ELj4ELj100EEvPKT0_PKjPS4_
                                        ; -- End function
	.section	.AMDGPU.csdata,"",@progbits
; Kernel info:
; codeLenInByte = 376
; NumSgprs: 11
; NumVgprs: 24
; NumAgprs: 0
; TotalNumVgprs: 24
; ScratchSize: 0
; MemoryBound: 0
; FloatMode: 240
; IeeeMode: 1
; LDSByteSize: 16896 bytes/workgroup (compile time only)
; SGPRBlocks: 1
; VGPRBlocks: 2
; NumSGPRsForWavesPerEU: 11
; NumVGPRsForWavesPerEU: 24
; AccumOffset: 24
; Occupancy: 3
; WaveLimiterHint : 1
; COMPUTE_PGM_RSRC2:SCRATCH_EN: 0
; COMPUTE_PGM_RSRC2:USER_SGPR: 6
; COMPUTE_PGM_RSRC2:TRAP_HANDLER: 0
; COMPUTE_PGM_RSRC2:TGID_X_EN: 1
; COMPUTE_PGM_RSRC2:TGID_Y_EN: 0
; COMPUTE_PGM_RSRC2:TGID_Z_EN: 0
; COMPUTE_PGM_RSRC2:TIDIG_COMP_CNT: 0
; COMPUTE_PGM_RSRC3_GFX90A:ACCUM_OFFSET: 5
; COMPUTE_PGM_RSRC3_GFX90A:TG_SPLIT: 0
	.section	.text._Z6kernelI23blocked_to_warp_stripedN15benchmark_utils11custom_typeIddEELj256ELj7ELj100EEvPKT0_PKjPS4_,"axG",@progbits,_Z6kernelI23blocked_to_warp_stripedN15benchmark_utils11custom_typeIddEELj256ELj7ELj100EEvPKT0_PKjPS4_,comdat
	.protected	_Z6kernelI23blocked_to_warp_stripedN15benchmark_utils11custom_typeIddEELj256ELj7ELj100EEvPKT0_PKjPS4_ ; -- Begin function _Z6kernelI23blocked_to_warp_stripedN15benchmark_utils11custom_typeIddEELj256ELj7ELj100EEvPKT0_PKjPS4_
	.globl	_Z6kernelI23blocked_to_warp_stripedN15benchmark_utils11custom_typeIddEELj256ELj7ELj100EEvPKT0_PKjPS4_
	.p2align	8
	.type	_Z6kernelI23blocked_to_warp_stripedN15benchmark_utils11custom_typeIddEELj256ELj7ELj100EEvPKT0_PKjPS4_,@function
_Z6kernelI23blocked_to_warp_stripedN15benchmark_utils11custom_typeIddEELj256ELj7ELj100EEvPKT0_PKjPS4_: ; @_Z6kernelI23blocked_to_warp_stripedN15benchmark_utils11custom_typeIddEELj256ELj7ELj100EEvPKT0_PKjPS4_
; %bb.0:
	s_load_dwordx2 s[2:3], s[4:5], 0x0
	s_mul_i32 s0, s6, 0x700
	s_mov_b32 s1, 0
	s_lshl_b64 s[0:1], s[0:1], 4
	v_mul_u32_u24_e32 v1, 7, v0
	s_waitcnt lgkmcnt(0)
	s_add_u32 s2, s2, s0
	s_addc_u32 s3, s3, s1
	v_lshlrev_b32_e32 v1, 4, v1
	global_load_dwordx4 v[2:5], v1, s[2:3] offset:48
	global_load_dwordx4 v[6:9], v1, s[2:3] offset:32
	global_load_dwordx4 v[10:13], v1, s[2:3] offset:16
	global_load_dwordx4 v[14:17], v1, s[2:3]
	global_load_dwordx4 v[18:21], v1, s[2:3] offset:96
	global_load_dwordx4 v[22:25], v1, s[2:3] offset:80
	;; [unrolled: 1-line block ×3, first 2 shown]
	v_lshrrev_b32_e32 v30, 6, v0
	v_mbcnt_lo_u32_b32 v1, -1, 0
	v_mul_u32_u24_e32 v31, 0x1c0, v30
	v_mbcnt_hi_u32_b32 v1, -1, v1
	v_lshlrev_b32_e32 v30, 4, v31
	s_movk_i32 s2, 0x70
	v_mad_u32_u24 v30, v1, s2, v30
	v_add_lshl_u32 v31, v1, v31, 4
	s_movk_i32 s2, 0x64
.LBB88_1:                               ; =>This Inner Loop Header: Depth=1
	s_waitcnt vmcnt(3)
	ds_write_b128 v30, v[14:17]
	ds_write_b128 v30, v[10:13] offset:16
	ds_write_b128 v30, v[6:9] offset:32
	;; [unrolled: 1-line block ×3, first 2 shown]
	s_waitcnt vmcnt(0)
	ds_write_b128 v30, v[26:29] offset:64
	ds_write_b128 v30, v[22:25] offset:80
	;; [unrolled: 1-line block ×3, first 2 shown]
	; wave barrier
	ds_read_b128 v[14:17], v31
	ds_read_b128 v[10:13], v31 offset:1024
	ds_read_b128 v[6:9], v31 offset:2048
	;; [unrolled: 1-line block ×6, first 2 shown]
	s_add_i32 s2, s2, -1
	s_cmp_lg_u32 s2, 0
	s_waitcnt lgkmcnt(0)
	s_barrier
	s_cbranch_scc1 .LBB88_1
; %bb.2:
	s_load_dwordx2 s[2:3], s[4:5], 0x10
	v_and_b32_e32 v0, 0xc0, v0
	v_lshlrev_b32_e32 v1, 4, v1
	v_mul_u32_u24_e32 v0, 7, v0
	v_lshlrev_b32_e32 v0, 4, v0
	s_waitcnt lgkmcnt(0)
	s_add_u32 s0, s2, s0
	s_addc_u32 s1, s3, s1
	v_mov_b32_e32 v30, s1
	v_add_co_u32_e32 v1, vcc, s0, v1
	v_addc_co_u32_e32 v30, vcc, 0, v30, vcc
	v_add_co_u32_e32 v0, vcc, v1, v0
	v_addc_co_u32_e32 v1, vcc, 0, v30, vcc
	global_store_dwordx4 v[0:1], v[14:17], off
	global_store_dwordx4 v[0:1], v[10:13], off offset:1024
	global_store_dwordx4 v[0:1], v[6:9], off offset:2048
	;; [unrolled: 1-line block ×3, first 2 shown]
	v_add_co_u32_e32 v0, vcc, 0x1000, v0
	v_addc_co_u32_e32 v1, vcc, 0, v1, vcc
	global_store_dwordx4 v[0:1], v[26:29], off
	global_store_dwordx4 v[0:1], v[22:25], off offset:1024
	global_store_dwordx4 v[0:1], v[18:21], off offset:2048
	s_endpgm
	.section	.rodata,"a",@progbits
	.p2align	6, 0x0
	.amdhsa_kernel _Z6kernelI23blocked_to_warp_stripedN15benchmark_utils11custom_typeIddEELj256ELj7ELj100EEvPKT0_PKjPS4_
		.amdhsa_group_segment_fixed_size 28672
		.amdhsa_private_segment_fixed_size 0
		.amdhsa_kernarg_size 24
		.amdhsa_user_sgpr_count 6
		.amdhsa_user_sgpr_private_segment_buffer 1
		.amdhsa_user_sgpr_dispatch_ptr 0
		.amdhsa_user_sgpr_queue_ptr 0
		.amdhsa_user_sgpr_kernarg_segment_ptr 1
		.amdhsa_user_sgpr_dispatch_id 0
		.amdhsa_user_sgpr_flat_scratch_init 0
		.amdhsa_user_sgpr_kernarg_preload_length 0
		.amdhsa_user_sgpr_kernarg_preload_offset 0
		.amdhsa_user_sgpr_private_segment_size 0
		.amdhsa_uses_dynamic_stack 0
		.amdhsa_system_sgpr_private_segment_wavefront_offset 0
		.amdhsa_system_sgpr_workgroup_id_x 1
		.amdhsa_system_sgpr_workgroup_id_y 0
		.amdhsa_system_sgpr_workgroup_id_z 0
		.amdhsa_system_sgpr_workgroup_info 0
		.amdhsa_system_vgpr_workitem_id 0
		.amdhsa_next_free_vgpr 32
		.amdhsa_next_free_sgpr 7
		.amdhsa_accum_offset 32
		.amdhsa_reserve_vcc 1
		.amdhsa_reserve_flat_scratch 0
		.amdhsa_float_round_mode_32 0
		.amdhsa_float_round_mode_16_64 0
		.amdhsa_float_denorm_mode_32 3
		.amdhsa_float_denorm_mode_16_64 3
		.amdhsa_dx10_clamp 1
		.amdhsa_ieee_mode 1
		.amdhsa_fp16_overflow 0
		.amdhsa_tg_split 0
		.amdhsa_exception_fp_ieee_invalid_op 0
		.amdhsa_exception_fp_denorm_src 0
		.amdhsa_exception_fp_ieee_div_zero 0
		.amdhsa_exception_fp_ieee_overflow 0
		.amdhsa_exception_fp_ieee_underflow 0
		.amdhsa_exception_fp_ieee_inexact 0
		.amdhsa_exception_int_div_zero 0
	.end_amdhsa_kernel
	.section	.text._Z6kernelI23blocked_to_warp_stripedN15benchmark_utils11custom_typeIddEELj256ELj7ELj100EEvPKT0_PKjPS4_,"axG",@progbits,_Z6kernelI23blocked_to_warp_stripedN15benchmark_utils11custom_typeIddEELj256ELj7ELj100EEvPKT0_PKjPS4_,comdat
.Lfunc_end88:
	.size	_Z6kernelI23blocked_to_warp_stripedN15benchmark_utils11custom_typeIddEELj256ELj7ELj100EEvPKT0_PKjPS4_, .Lfunc_end88-_Z6kernelI23blocked_to_warp_stripedN15benchmark_utils11custom_typeIddEELj256ELj7ELj100EEvPKT0_PKjPS4_
                                        ; -- End function
	.section	.AMDGPU.csdata,"",@progbits
; Kernel info:
; codeLenInByte = 428
; NumSgprs: 11
; NumVgprs: 32
; NumAgprs: 0
; TotalNumVgprs: 32
; ScratchSize: 0
; MemoryBound: 1
; FloatMode: 240
; IeeeMode: 1
; LDSByteSize: 28672 bytes/workgroup (compile time only)
; SGPRBlocks: 1
; VGPRBlocks: 3
; NumSGPRsForWavesPerEU: 11
; NumVGPRsForWavesPerEU: 32
; AccumOffset: 32
; Occupancy: 2
; WaveLimiterHint : 1
; COMPUTE_PGM_RSRC2:SCRATCH_EN: 0
; COMPUTE_PGM_RSRC2:USER_SGPR: 6
; COMPUTE_PGM_RSRC2:TRAP_HANDLER: 0
; COMPUTE_PGM_RSRC2:TGID_X_EN: 1
; COMPUTE_PGM_RSRC2:TGID_Y_EN: 0
; COMPUTE_PGM_RSRC2:TGID_Z_EN: 0
; COMPUTE_PGM_RSRC2:TIDIG_COMP_CNT: 0
; COMPUTE_PGM_RSRC3_GFX90A:ACCUM_OFFSET: 7
; COMPUTE_PGM_RSRC3_GFX90A:TG_SPLIT: 0
	.section	.text._Z6kernelI23blocked_to_warp_stripedN15benchmark_utils11custom_typeIddEELj256ELj8ELj100EEvPKT0_PKjPS4_,"axG",@progbits,_Z6kernelI23blocked_to_warp_stripedN15benchmark_utils11custom_typeIddEELj256ELj8ELj100EEvPKT0_PKjPS4_,comdat
	.protected	_Z6kernelI23blocked_to_warp_stripedN15benchmark_utils11custom_typeIddEELj256ELj8ELj100EEvPKT0_PKjPS4_ ; -- Begin function _Z6kernelI23blocked_to_warp_stripedN15benchmark_utils11custom_typeIddEELj256ELj8ELj100EEvPKT0_PKjPS4_
	.globl	_Z6kernelI23blocked_to_warp_stripedN15benchmark_utils11custom_typeIddEELj256ELj8ELj100EEvPKT0_PKjPS4_
	.p2align	8
	.type	_Z6kernelI23blocked_to_warp_stripedN15benchmark_utils11custom_typeIddEELj256ELj8ELj100EEvPKT0_PKjPS4_,@function
_Z6kernelI23blocked_to_warp_stripedN15benchmark_utils11custom_typeIddEELj256ELj8ELj100EEvPKT0_PKjPS4_: ; @_Z6kernelI23blocked_to_warp_stripedN15benchmark_utils11custom_typeIddEELj256ELj8ELj100EEvPKT0_PKjPS4_
; %bb.0:
	s_load_dwordx2 s[2:3], s[4:5], 0x0
	s_lshl_b32 s0, s6, 11
	s_mov_b32 s1, 0
	s_lshl_b64 s[0:1], s[0:1], 4
	v_lshlrev_b32_e32 v1, 7, v0
	s_waitcnt lgkmcnt(0)
	s_add_u32 s2, s2, s0
	s_addc_u32 s3, s3, s1
	global_load_dwordx4 v[2:5], v1, s[2:3] offset:48
	global_load_dwordx4 v[6:9], v1, s[2:3] offset:32
	;; [unrolled: 1-line block ×3, first 2 shown]
	global_load_dwordx4 v[14:17], v1, s[2:3]
	global_load_dwordx4 v[18:21], v1, s[2:3] offset:112
	global_load_dwordx4 v[22:25], v1, s[2:3] offset:96
	;; [unrolled: 1-line block ×4, first 2 shown]
	v_mbcnt_lo_u32_b32 v1, -1, 0
	v_lshlrev_b32_e32 v35, 3, v0
	v_mbcnt_hi_u32_b32 v1, -1, v1
	v_and_b32_e32 v0, 0xc0, v0
	v_add_u32_e32 v0, v1, v0
	v_lshlrev_b32_e32 v34, 2, v0
	v_and_b32_e32 v34, 0x7f0, v34
	v_lshl_add_u32 v34, v0, 7, v34
	v_and_b32_e32 v0, 0x600, v35
	v_or_b32_e32 v42, v1, v0
	v_add_u32_e32 v36, 64, v42
	v_or_b32_e32 v37, 0x80, v42
	v_add_u32_e32 v38, 0xc0, v42
	;; [unrolled: 2-line block ×4, first 2 shown]
	v_lshrrev_b32_e32 v35, 5, v42
	v_lshrrev_b32_e32 v36, 5, v36
	;; [unrolled: 1-line block ×8, first 2 shown]
	v_add_lshl_u32 v35, v35, v42, 4
	v_add_lshl_u32 v36, v36, v42, 4
	;; [unrolled: 1-line block ×8, first 2 shown]
	s_movk_i32 s2, 0x64
.LBB89_1:                               ; =>This Inner Loop Header: Depth=1
	s_waitcnt vmcnt(4)
	ds_write_b128 v34, v[14:17]
	ds_write_b128 v34, v[10:13] offset:16
	ds_write_b128 v34, v[6:9] offset:32
	;; [unrolled: 1-line block ×3, first 2 shown]
	s_waitcnt vmcnt(0)
	ds_write_b128 v34, v[30:33] offset:64
	ds_write_b128 v34, v[26:29] offset:80
	ds_write_b128 v34, v[22:25] offset:96
	ds_write_b128 v34, v[18:21] offset:112
	; wave barrier
	ds_read_b128 v[14:17], v35
	ds_read_b128 v[10:13], v36 offset:1024
	ds_read_b128 v[6:9], v37 offset:2048
	;; [unrolled: 1-line block ×7, first 2 shown]
	s_add_i32 s2, s2, -1
	s_cmp_lg_u32 s2, 0
	s_waitcnt lgkmcnt(0)
	s_barrier
	s_cbranch_scc1 .LBB89_1
; %bb.2:
	s_load_dwordx2 s[2:3], s[4:5], 0x10
	v_lshlrev_b32_e32 v1, 4, v1
	v_lshlrev_b32_e32 v0, 4, v0
	s_waitcnt lgkmcnt(0)
	s_add_u32 s0, s2, s0
	s_addc_u32 s1, s3, s1
	v_mov_b32_e32 v34, s1
	v_add_co_u32_e32 v1, vcc, s0, v1
	v_addc_co_u32_e32 v34, vcc, 0, v34, vcc
	v_add_co_u32_e32 v0, vcc, v1, v0
	v_addc_co_u32_e32 v1, vcc, 0, v34, vcc
	s_movk_i32 s0, 0x1000
	global_store_dwordx4 v[0:1], v[14:17], off
	global_store_dwordx4 v[0:1], v[10:13], off offset:1024
	global_store_dwordx4 v[0:1], v[6:9], off offset:2048
	;; [unrolled: 1-line block ×3, first 2 shown]
	v_add_co_u32_e32 v0, vcc, s0, v0
	v_addc_co_u32_e32 v1, vcc, 0, v1, vcc
	global_store_dwordx4 v[0:1], v[30:33], off
	global_store_dwordx4 v[0:1], v[26:29], off offset:1024
	global_store_dwordx4 v[0:1], v[22:25], off offset:2048
	;; [unrolled: 1-line block ×3, first 2 shown]
	s_endpgm
	.section	.rodata,"a",@progbits
	.p2align	6, 0x0
	.amdhsa_kernel _Z6kernelI23blocked_to_warp_stripedN15benchmark_utils11custom_typeIddEELj256ELj8ELj100EEvPKT0_PKjPS4_
		.amdhsa_group_segment_fixed_size 33792
		.amdhsa_private_segment_fixed_size 0
		.amdhsa_kernarg_size 24
		.amdhsa_user_sgpr_count 6
		.amdhsa_user_sgpr_private_segment_buffer 1
		.amdhsa_user_sgpr_dispatch_ptr 0
		.amdhsa_user_sgpr_queue_ptr 0
		.amdhsa_user_sgpr_kernarg_segment_ptr 1
		.amdhsa_user_sgpr_dispatch_id 0
		.amdhsa_user_sgpr_flat_scratch_init 0
		.amdhsa_user_sgpr_kernarg_preload_length 0
		.amdhsa_user_sgpr_kernarg_preload_offset 0
		.amdhsa_user_sgpr_private_segment_size 0
		.amdhsa_uses_dynamic_stack 0
		.amdhsa_system_sgpr_private_segment_wavefront_offset 0
		.amdhsa_system_sgpr_workgroup_id_x 1
		.amdhsa_system_sgpr_workgroup_id_y 0
		.amdhsa_system_sgpr_workgroup_id_z 0
		.amdhsa_system_sgpr_workgroup_info 0
		.amdhsa_system_vgpr_workitem_id 0
		.amdhsa_next_free_vgpr 44
		.amdhsa_next_free_sgpr 7
		.amdhsa_accum_offset 44
		.amdhsa_reserve_vcc 1
		.amdhsa_reserve_flat_scratch 0
		.amdhsa_float_round_mode_32 0
		.amdhsa_float_round_mode_16_64 0
		.amdhsa_float_denorm_mode_32 3
		.amdhsa_float_denorm_mode_16_64 3
		.amdhsa_dx10_clamp 1
		.amdhsa_ieee_mode 1
		.amdhsa_fp16_overflow 0
		.amdhsa_tg_split 0
		.amdhsa_exception_fp_ieee_invalid_op 0
		.amdhsa_exception_fp_denorm_src 0
		.amdhsa_exception_fp_ieee_div_zero 0
		.amdhsa_exception_fp_ieee_overflow 0
		.amdhsa_exception_fp_ieee_underflow 0
		.amdhsa_exception_fp_ieee_inexact 0
		.amdhsa_exception_int_div_zero 0
	.end_amdhsa_kernel
	.section	.text._Z6kernelI23blocked_to_warp_stripedN15benchmark_utils11custom_typeIddEELj256ELj8ELj100EEvPKT0_PKjPS4_,"axG",@progbits,_Z6kernelI23blocked_to_warp_stripedN15benchmark_utils11custom_typeIddEELj256ELj8ELj100EEvPKT0_PKjPS4_,comdat
.Lfunc_end89:
	.size	_Z6kernelI23blocked_to_warp_stripedN15benchmark_utils11custom_typeIddEELj256ELj8ELj100EEvPKT0_PKjPS4_, .Lfunc_end89-_Z6kernelI23blocked_to_warp_stripedN15benchmark_utils11custom_typeIddEELj256ELj8ELj100EEvPKT0_PKjPS4_
                                        ; -- End function
	.section	.AMDGPU.csdata,"",@progbits
; Kernel info:
; codeLenInByte = 600
; NumSgprs: 11
; NumVgprs: 44
; NumAgprs: 0
; TotalNumVgprs: 44
; ScratchSize: 0
; MemoryBound: 0
; FloatMode: 240
; IeeeMode: 1
; LDSByteSize: 33792 bytes/workgroup (compile time only)
; SGPRBlocks: 1
; VGPRBlocks: 5
; NumSGPRsForWavesPerEU: 11
; NumVGPRsForWavesPerEU: 44
; AccumOffset: 44
; Occupancy: 1
; WaveLimiterHint : 1
; COMPUTE_PGM_RSRC2:SCRATCH_EN: 0
; COMPUTE_PGM_RSRC2:USER_SGPR: 6
; COMPUTE_PGM_RSRC2:TRAP_HANDLER: 0
; COMPUTE_PGM_RSRC2:TGID_X_EN: 1
; COMPUTE_PGM_RSRC2:TGID_Y_EN: 0
; COMPUTE_PGM_RSRC2:TGID_Z_EN: 0
; COMPUTE_PGM_RSRC2:TIDIG_COMP_CNT: 0
; COMPUTE_PGM_RSRC3_GFX90A:ACCUM_OFFSET: 10
; COMPUTE_PGM_RSRC3_GFX90A:TG_SPLIT: 0
	.section	.text._Z6kernelI23warp_striped_to_blockediLj256ELj1ELj100EEvPKT0_PKjPS1_,"axG",@progbits,_Z6kernelI23warp_striped_to_blockediLj256ELj1ELj100EEvPKT0_PKjPS1_,comdat
	.protected	_Z6kernelI23warp_striped_to_blockediLj256ELj1ELj100EEvPKT0_PKjPS1_ ; -- Begin function _Z6kernelI23warp_striped_to_blockediLj256ELj1ELj100EEvPKT0_PKjPS1_
	.globl	_Z6kernelI23warp_striped_to_blockediLj256ELj1ELj100EEvPKT0_PKjPS1_
	.p2align	8
	.type	_Z6kernelI23warp_striped_to_blockediLj256ELj1ELj100EEvPKT0_PKjPS1_,@function
_Z6kernelI23warp_striped_to_blockediLj256ELj1ELj100EEvPKT0_PKjPS1_: ; @_Z6kernelI23warp_striped_to_blockediLj256ELj1ELj100EEvPKT0_PKjPS1_
; %bb.0:
	s_load_dwordx2 s[2:3], s[4:5], 0x0
	s_lshl_b32 s0, s6, 8
	s_mov_b32 s1, 0
	s_lshl_b64 s[0:1], s[0:1], 2
	v_mbcnt_lo_u32_b32 v1, -1, 0
	s_waitcnt lgkmcnt(0)
	s_add_u32 s2, s2, s0
	v_mbcnt_hi_u32_b32 v1, -1, v1
	s_addc_u32 s3, s3, s1
	v_lshlrev_b32_e32 v4, 2, v1
	v_and_b32_e32 v2, 0xc0, v0
	v_mov_b32_e32 v1, s3
	v_add_co_u32_e32 v3, vcc, s2, v4
	v_addc_co_u32_e32 v1, vcc, 0, v1, vcc
	v_lshlrev_b32_e32 v5, 2, v2
	v_add_co_u32_e32 v2, vcc, v3, v5
	v_addc_co_u32_e32 v3, vcc, 0, v1, vcc
	global_load_dword v1, v[2:3], off
	v_add_u32_e32 v2, v4, v5
	s_movk_i32 s2, 0x64
.LBB90_1:                               ; =>This Inner Loop Header: Depth=1
	s_waitcnt vmcnt(0)
	ds_write_b32 v2, v1
	; wave barrier
	ds_read_b32 v1, v2
	s_add_i32 s2, s2, -1
	s_cmp_lg_u32 s2, 0
	s_waitcnt lgkmcnt(0)
	s_barrier
	s_cbranch_scc1 .LBB90_1
; %bb.2:
	s_load_dwordx2 s[2:3], s[4:5], 0x10
	v_lshlrev_b32_e32 v0, 2, v0
	s_waitcnt lgkmcnt(0)
	s_add_u32 s0, s2, s0
	s_addc_u32 s1, s3, s1
	global_store_dword v0, v1, s[0:1]
	s_endpgm
	.section	.rodata,"a",@progbits
	.p2align	6, 0x0
	.amdhsa_kernel _Z6kernelI23warp_striped_to_blockediLj256ELj1ELj100EEvPKT0_PKjPS1_
		.amdhsa_group_segment_fixed_size 1024
		.amdhsa_private_segment_fixed_size 0
		.amdhsa_kernarg_size 24
		.amdhsa_user_sgpr_count 6
		.amdhsa_user_sgpr_private_segment_buffer 1
		.amdhsa_user_sgpr_dispatch_ptr 0
		.amdhsa_user_sgpr_queue_ptr 0
		.amdhsa_user_sgpr_kernarg_segment_ptr 1
		.amdhsa_user_sgpr_dispatch_id 0
		.amdhsa_user_sgpr_flat_scratch_init 0
		.amdhsa_user_sgpr_kernarg_preload_length 0
		.amdhsa_user_sgpr_kernarg_preload_offset 0
		.amdhsa_user_sgpr_private_segment_size 0
		.amdhsa_uses_dynamic_stack 0
		.amdhsa_system_sgpr_private_segment_wavefront_offset 0
		.amdhsa_system_sgpr_workgroup_id_x 1
		.amdhsa_system_sgpr_workgroup_id_y 0
		.amdhsa_system_sgpr_workgroup_id_z 0
		.amdhsa_system_sgpr_workgroup_info 0
		.amdhsa_system_vgpr_workitem_id 0
		.amdhsa_next_free_vgpr 6
		.amdhsa_next_free_sgpr 7
		.amdhsa_accum_offset 8
		.amdhsa_reserve_vcc 1
		.amdhsa_reserve_flat_scratch 0
		.amdhsa_float_round_mode_32 0
		.amdhsa_float_round_mode_16_64 0
		.amdhsa_float_denorm_mode_32 3
		.amdhsa_float_denorm_mode_16_64 3
		.amdhsa_dx10_clamp 1
		.amdhsa_ieee_mode 1
		.amdhsa_fp16_overflow 0
		.amdhsa_tg_split 0
		.amdhsa_exception_fp_ieee_invalid_op 0
		.amdhsa_exception_fp_denorm_src 0
		.amdhsa_exception_fp_ieee_div_zero 0
		.amdhsa_exception_fp_ieee_overflow 0
		.amdhsa_exception_fp_ieee_underflow 0
		.amdhsa_exception_fp_ieee_inexact 0
		.amdhsa_exception_int_div_zero 0
	.end_amdhsa_kernel
	.section	.text._Z6kernelI23warp_striped_to_blockediLj256ELj1ELj100EEvPKT0_PKjPS1_,"axG",@progbits,_Z6kernelI23warp_striped_to_blockediLj256ELj1ELj100EEvPKT0_PKjPS1_,comdat
.Lfunc_end90:
	.size	_Z6kernelI23warp_striped_to_blockediLj256ELj1ELj100EEvPKT0_PKjPS1_, .Lfunc_end90-_Z6kernelI23warp_striped_to_blockediLj256ELj1ELj100EEvPKT0_PKjPS1_
                                        ; -- End function
	.section	.AMDGPU.csdata,"",@progbits
; Kernel info:
; codeLenInByte = 176
; NumSgprs: 11
; NumVgprs: 6
; NumAgprs: 0
; TotalNumVgprs: 6
; ScratchSize: 0
; MemoryBound: 0
; FloatMode: 240
; IeeeMode: 1
; LDSByteSize: 1024 bytes/workgroup (compile time only)
; SGPRBlocks: 1
; VGPRBlocks: 0
; NumSGPRsForWavesPerEU: 11
; NumVGPRsForWavesPerEU: 6
; AccumOffset: 8
; Occupancy: 8
; WaveLimiterHint : 0
; COMPUTE_PGM_RSRC2:SCRATCH_EN: 0
; COMPUTE_PGM_RSRC2:USER_SGPR: 6
; COMPUTE_PGM_RSRC2:TRAP_HANDLER: 0
; COMPUTE_PGM_RSRC2:TGID_X_EN: 1
; COMPUTE_PGM_RSRC2:TGID_Y_EN: 0
; COMPUTE_PGM_RSRC2:TGID_Z_EN: 0
; COMPUTE_PGM_RSRC2:TIDIG_COMP_CNT: 0
; COMPUTE_PGM_RSRC3_GFX90A:ACCUM_OFFSET: 1
; COMPUTE_PGM_RSRC3_GFX90A:TG_SPLIT: 0
	.section	.text._Z6kernelI23warp_striped_to_blockediLj256ELj2ELj100EEvPKT0_PKjPS1_,"axG",@progbits,_Z6kernelI23warp_striped_to_blockediLj256ELj2ELj100EEvPKT0_PKjPS1_,comdat
	.protected	_Z6kernelI23warp_striped_to_blockediLj256ELj2ELj100EEvPKT0_PKjPS1_ ; -- Begin function _Z6kernelI23warp_striped_to_blockediLj256ELj2ELj100EEvPKT0_PKjPS1_
	.globl	_Z6kernelI23warp_striped_to_blockediLj256ELj2ELj100EEvPKT0_PKjPS1_
	.p2align	8
	.type	_Z6kernelI23warp_striped_to_blockediLj256ELj2ELj100EEvPKT0_PKjPS1_,@function
_Z6kernelI23warp_striped_to_blockediLj256ELj2ELj100EEvPKT0_PKjPS1_: ; @_Z6kernelI23warp_striped_to_blockediLj256ELj2ELj100EEvPKT0_PKjPS1_
; %bb.0:
	s_load_dwordx2 s[2:3], s[4:5], 0x0
	s_lshl_b32 s0, s6, 9
	s_mov_b32 s1, 0
	s_lshl_b64 s[0:1], s[0:1], 2
	v_mbcnt_lo_u32_b32 v1, -1, 0
	s_waitcnt lgkmcnt(0)
	s_add_u32 s2, s2, s0
	v_mbcnt_hi_u32_b32 v6, -1, v1
	s_addc_u32 s3, s3, s1
	v_lshlrev_b32_e32 v1, 1, v0
	v_lshlrev_b32_e32 v2, 2, v6
	v_and_b32_e32 v7, 0x180, v1
	v_mov_b32_e32 v3, s3
	v_add_co_u32_e32 v2, vcc, s2, v2
	v_addc_co_u32_e32 v3, vcc, 0, v3, vcc
	v_lshlrev_b32_e32 v4, 2, v7
	v_add_co_u32_e32 v4, vcc, v2, v4
	v_addc_co_u32_e32 v5, vcc, 0, v3, vcc
	global_load_dword v2, v[4:5], off
	global_load_dword v3, v[4:5], off offset:256
	v_or_b32_e32 v5, v6, v7
	v_lshrrev_b32_e32 v4, 3, v5
	v_lshlrev_b32_e32 v7, 2, v5
	v_add_u32_e32 v5, 64, v5
	v_and_b32_e32 v0, 0xc0, v0
	v_lshrrev_b32_e32 v5, 3, v5
	v_add_u32_e32 v0, v6, v0
	v_and_b32_e32 v4, 60, v4
	v_and_b32_e32 v5, 0x7c, v5
	v_lshlrev_b32_e32 v6, 1, v0
	v_bfe_u32 v0, v0, 4, 27
	v_add_u32_e32 v4, v4, v7
	v_add_u32_e32 v5, v5, v7
	v_add_lshl_u32 v0, v0, v6, 2
	s_movk_i32 s2, 0x64
.LBB91_1:                               ; =>This Inner Loop Header: Depth=1
	s_waitcnt vmcnt(1)
	ds_write_b32 v4, v2
	s_waitcnt vmcnt(0)
	ds_write_b32 v5, v3 offset:256
	; wave barrier
	ds_read2_b32 v[2:3], v0 offset1:1
	s_add_i32 s2, s2, -1
	s_cmp_lg_u32 s2, 0
	s_waitcnt lgkmcnt(0)
	s_barrier
	s_cbranch_scc1 .LBB91_1
; %bb.2:
	s_load_dwordx2 s[2:3], s[4:5], 0x10
	v_lshlrev_b32_e32 v0, 2, v1
	s_waitcnt lgkmcnt(0)
	s_add_u32 s0, s2, s0
	s_addc_u32 s1, s3, s1
	global_store_dwordx2 v0, v[2:3], s[0:1]
	s_endpgm
	.section	.rodata,"a",@progbits
	.p2align	6, 0x0
	.amdhsa_kernel _Z6kernelI23warp_striped_to_blockediLj256ELj2ELj100EEvPKT0_PKjPS1_
		.amdhsa_group_segment_fixed_size 2112
		.amdhsa_private_segment_fixed_size 0
		.amdhsa_kernarg_size 24
		.amdhsa_user_sgpr_count 6
		.amdhsa_user_sgpr_private_segment_buffer 1
		.amdhsa_user_sgpr_dispatch_ptr 0
		.amdhsa_user_sgpr_queue_ptr 0
		.amdhsa_user_sgpr_kernarg_segment_ptr 1
		.amdhsa_user_sgpr_dispatch_id 0
		.amdhsa_user_sgpr_flat_scratch_init 0
		.amdhsa_user_sgpr_kernarg_preload_length 0
		.amdhsa_user_sgpr_kernarg_preload_offset 0
		.amdhsa_user_sgpr_private_segment_size 0
		.amdhsa_uses_dynamic_stack 0
		.amdhsa_system_sgpr_private_segment_wavefront_offset 0
		.amdhsa_system_sgpr_workgroup_id_x 1
		.amdhsa_system_sgpr_workgroup_id_y 0
		.amdhsa_system_sgpr_workgroup_id_z 0
		.amdhsa_system_sgpr_workgroup_info 0
		.amdhsa_system_vgpr_workitem_id 0
		.amdhsa_next_free_vgpr 8
		.amdhsa_next_free_sgpr 7
		.amdhsa_accum_offset 8
		.amdhsa_reserve_vcc 1
		.amdhsa_reserve_flat_scratch 0
		.amdhsa_float_round_mode_32 0
		.amdhsa_float_round_mode_16_64 0
		.amdhsa_float_denorm_mode_32 3
		.amdhsa_float_denorm_mode_16_64 3
		.amdhsa_dx10_clamp 1
		.amdhsa_ieee_mode 1
		.amdhsa_fp16_overflow 0
		.amdhsa_tg_split 0
		.amdhsa_exception_fp_ieee_invalid_op 0
		.amdhsa_exception_fp_denorm_src 0
		.amdhsa_exception_fp_ieee_div_zero 0
		.amdhsa_exception_fp_ieee_overflow 0
		.amdhsa_exception_fp_ieee_underflow 0
		.amdhsa_exception_fp_ieee_inexact 0
		.amdhsa_exception_int_div_zero 0
	.end_amdhsa_kernel
	.section	.text._Z6kernelI23warp_striped_to_blockediLj256ELj2ELj100EEvPKT0_PKjPS1_,"axG",@progbits,_Z6kernelI23warp_striped_to_blockediLj256ELj2ELj100EEvPKT0_PKjPS1_,comdat
.Lfunc_end91:
	.size	_Z6kernelI23warp_striped_to_blockediLj256ELj2ELj100EEvPKT0_PKjPS1_, .Lfunc_end91-_Z6kernelI23warp_striped_to_blockediLj256ELj2ELj100EEvPKT0_PKjPS1_
                                        ; -- End function
	.section	.AMDGPU.csdata,"",@progbits
; Kernel info:
; codeLenInByte = 268
; NumSgprs: 11
; NumVgprs: 8
; NumAgprs: 0
; TotalNumVgprs: 8
; ScratchSize: 0
; MemoryBound: 0
; FloatMode: 240
; IeeeMode: 1
; LDSByteSize: 2112 bytes/workgroup (compile time only)
; SGPRBlocks: 1
; VGPRBlocks: 0
; NumSGPRsForWavesPerEU: 11
; NumVGPRsForWavesPerEU: 8
; AccumOffset: 8
; Occupancy: 8
; WaveLimiterHint : 1
; COMPUTE_PGM_RSRC2:SCRATCH_EN: 0
; COMPUTE_PGM_RSRC2:USER_SGPR: 6
; COMPUTE_PGM_RSRC2:TRAP_HANDLER: 0
; COMPUTE_PGM_RSRC2:TGID_X_EN: 1
; COMPUTE_PGM_RSRC2:TGID_Y_EN: 0
; COMPUTE_PGM_RSRC2:TGID_Z_EN: 0
; COMPUTE_PGM_RSRC2:TIDIG_COMP_CNT: 0
; COMPUTE_PGM_RSRC3_GFX90A:ACCUM_OFFSET: 1
; COMPUTE_PGM_RSRC3_GFX90A:TG_SPLIT: 0
	.section	.text._Z6kernelI23warp_striped_to_blockediLj256ELj3ELj100EEvPKT0_PKjPS1_,"axG",@progbits,_Z6kernelI23warp_striped_to_blockediLj256ELj3ELj100EEvPKT0_PKjPS1_,comdat
	.protected	_Z6kernelI23warp_striped_to_blockediLj256ELj3ELj100EEvPKT0_PKjPS1_ ; -- Begin function _Z6kernelI23warp_striped_to_blockediLj256ELj3ELj100EEvPKT0_PKjPS1_
	.globl	_Z6kernelI23warp_striped_to_blockediLj256ELj3ELj100EEvPKT0_PKjPS1_
	.p2align	8
	.type	_Z6kernelI23warp_striped_to_blockediLj256ELj3ELj100EEvPKT0_PKjPS1_,@function
_Z6kernelI23warp_striped_to_blockediLj256ELj3ELj100EEvPKT0_PKjPS1_: ; @_Z6kernelI23warp_striped_to_blockediLj256ELj3ELj100EEvPKT0_PKjPS1_
; %bb.0:
	s_load_dwordx2 s[2:3], s[4:5], 0x0
	s_mul_i32 s0, s6, 0x300
	s_mov_b32 s1, 0
	s_lshl_b64 s[0:1], s[0:1], 2
	v_mbcnt_lo_u32_b32 v1, -1, 0
	s_waitcnt lgkmcnt(0)
	s_add_u32 s2, s2, s0
	v_mbcnt_hi_u32_b32 v5, -1, v1
	s_addc_u32 s3, s3, s1
	v_and_b32_e32 v1, 0xc0, v0
	v_lshlrev_b32_e32 v8, 2, v5
	v_mul_u32_u24_e32 v1, 3, v1
	v_mov_b32_e32 v2, s3
	v_add_co_u32_e32 v3, vcc, s2, v8
	v_addc_co_u32_e32 v2, vcc, 0, v2, vcc
	v_lshlrev_b32_e32 v1, 2, v1
	v_add_co_u32_e32 v6, vcc, v3, v1
	v_addc_co_u32_e32 v7, vcc, 0, v2, vcc
	global_load_dword v2, v[6:7], off
	global_load_dword v3, v[6:7], off offset:256
	global_load_dword v4, v[6:7], off offset:512
	v_lshrrev_b32_e32 v1, 6, v0
	v_mul_u32_u24_e32 v6, 0xc0, v1
	v_mul_u32_u24_e32 v5, 3, v5
	v_lshl_add_u32 v1, v6, 2, v8
	v_add_lshl_u32 v5, v5, v6, 2
	s_movk_i32 s2, 0x64
.LBB92_1:                               ; =>This Inner Loop Header: Depth=1
	s_waitcnt vmcnt(1)
	ds_write2st64_b32 v1, v2, v3 offset1:1
	s_waitcnt vmcnt(0)
	ds_write_b32 v1, v4 offset:512
	; wave barrier
	ds_read2_b32 v[2:3], v5 offset1:1
	ds_read_b32 v4, v5 offset:8
	s_add_i32 s2, s2, -1
	s_cmp_lg_u32 s2, 0
	s_waitcnt lgkmcnt(0)
	s_barrier
	s_cbranch_scc1 .LBB92_1
; %bb.2:
	s_load_dwordx2 s[2:3], s[4:5], 0x10
	v_mul_u32_u24_e32 v0, 3, v0
	v_lshlrev_b32_e32 v0, 2, v0
	s_waitcnt lgkmcnt(0)
	s_add_u32 s0, s2, s0
	s_addc_u32 s1, s3, s1
	global_store_dwordx3 v0, v[2:4], s[0:1]
	s_endpgm
	.section	.rodata,"a",@progbits
	.p2align	6, 0x0
	.amdhsa_kernel _Z6kernelI23warp_striped_to_blockediLj256ELj3ELj100EEvPKT0_PKjPS1_
		.amdhsa_group_segment_fixed_size 3072
		.amdhsa_private_segment_fixed_size 0
		.amdhsa_kernarg_size 24
		.amdhsa_user_sgpr_count 6
		.amdhsa_user_sgpr_private_segment_buffer 1
		.amdhsa_user_sgpr_dispatch_ptr 0
		.amdhsa_user_sgpr_queue_ptr 0
		.amdhsa_user_sgpr_kernarg_segment_ptr 1
		.amdhsa_user_sgpr_dispatch_id 0
		.amdhsa_user_sgpr_flat_scratch_init 0
		.amdhsa_user_sgpr_kernarg_preload_length 0
		.amdhsa_user_sgpr_kernarg_preload_offset 0
		.amdhsa_user_sgpr_private_segment_size 0
		.amdhsa_uses_dynamic_stack 0
		.amdhsa_system_sgpr_private_segment_wavefront_offset 0
		.amdhsa_system_sgpr_workgroup_id_x 1
		.amdhsa_system_sgpr_workgroup_id_y 0
		.amdhsa_system_sgpr_workgroup_id_z 0
		.amdhsa_system_sgpr_workgroup_info 0
		.amdhsa_system_vgpr_workitem_id 0
		.amdhsa_next_free_vgpr 9
		.amdhsa_next_free_sgpr 7
		.amdhsa_accum_offset 12
		.amdhsa_reserve_vcc 1
		.amdhsa_reserve_flat_scratch 0
		.amdhsa_float_round_mode_32 0
		.amdhsa_float_round_mode_16_64 0
		.amdhsa_float_denorm_mode_32 3
		.amdhsa_float_denorm_mode_16_64 3
		.amdhsa_dx10_clamp 1
		.amdhsa_ieee_mode 1
		.amdhsa_fp16_overflow 0
		.amdhsa_tg_split 0
		.amdhsa_exception_fp_ieee_invalid_op 0
		.amdhsa_exception_fp_denorm_src 0
		.amdhsa_exception_fp_ieee_div_zero 0
		.amdhsa_exception_fp_ieee_overflow 0
		.amdhsa_exception_fp_ieee_underflow 0
		.amdhsa_exception_fp_ieee_inexact 0
		.amdhsa_exception_int_div_zero 0
	.end_amdhsa_kernel
	.section	.text._Z6kernelI23warp_striped_to_blockediLj256ELj3ELj100EEvPKT0_PKjPS1_,"axG",@progbits,_Z6kernelI23warp_striped_to_blockediLj256ELj3ELj100EEvPKT0_PKjPS1_,comdat
.Lfunc_end92:
	.size	_Z6kernelI23warp_striped_to_blockediLj256ELj3ELj100EEvPKT0_PKjPS1_, .Lfunc_end92-_Z6kernelI23warp_striped_to_blockediLj256ELj3ELj100EEvPKT0_PKjPS1_
                                        ; -- End function
	.section	.AMDGPU.csdata,"",@progbits
; Kernel info:
; codeLenInByte = 252
; NumSgprs: 11
; NumVgprs: 9
; NumAgprs: 0
; TotalNumVgprs: 9
; ScratchSize: 0
; MemoryBound: 0
; FloatMode: 240
; IeeeMode: 1
; LDSByteSize: 3072 bytes/workgroup (compile time only)
; SGPRBlocks: 1
; VGPRBlocks: 1
; NumSGPRsForWavesPerEU: 11
; NumVGPRsForWavesPerEU: 9
; AccumOffset: 12
; Occupancy: 8
; WaveLimiterHint : 1
; COMPUTE_PGM_RSRC2:SCRATCH_EN: 0
; COMPUTE_PGM_RSRC2:USER_SGPR: 6
; COMPUTE_PGM_RSRC2:TRAP_HANDLER: 0
; COMPUTE_PGM_RSRC2:TGID_X_EN: 1
; COMPUTE_PGM_RSRC2:TGID_Y_EN: 0
; COMPUTE_PGM_RSRC2:TGID_Z_EN: 0
; COMPUTE_PGM_RSRC2:TIDIG_COMP_CNT: 0
; COMPUTE_PGM_RSRC3_GFX90A:ACCUM_OFFSET: 2
; COMPUTE_PGM_RSRC3_GFX90A:TG_SPLIT: 0
	.section	.text._Z6kernelI23warp_striped_to_blockediLj256ELj4ELj100EEvPKT0_PKjPS1_,"axG",@progbits,_Z6kernelI23warp_striped_to_blockediLj256ELj4ELj100EEvPKT0_PKjPS1_,comdat
	.protected	_Z6kernelI23warp_striped_to_blockediLj256ELj4ELj100EEvPKT0_PKjPS1_ ; -- Begin function _Z6kernelI23warp_striped_to_blockediLj256ELj4ELj100EEvPKT0_PKjPS1_
	.globl	_Z6kernelI23warp_striped_to_blockediLj256ELj4ELj100EEvPKT0_PKjPS1_
	.p2align	8
	.type	_Z6kernelI23warp_striped_to_blockediLj256ELj4ELj100EEvPKT0_PKjPS1_,@function
_Z6kernelI23warp_striped_to_blockediLj256ELj4ELj100EEvPKT0_PKjPS1_: ; @_Z6kernelI23warp_striped_to_blockediLj256ELj4ELj100EEvPKT0_PKjPS1_
; %bb.0:
	s_load_dwordx2 s[2:3], s[4:5], 0x0
	s_lshl_b32 s0, s6, 10
	s_mov_b32 s1, 0
	s_lshl_b64 s[0:1], s[0:1], 2
	v_mbcnt_lo_u32_b32 v1, -1, 0
	s_waitcnt lgkmcnt(0)
	s_add_u32 s2, s2, s0
	v_mbcnt_hi_u32_b32 v10, -1, v1
	s_addc_u32 s3, s3, s1
	v_lshlrev_b32_e32 v1, 2, v0
	v_lshlrev_b32_e32 v2, 2, v10
	v_and_b32_e32 v8, 0x300, v1
	v_mov_b32_e32 v3, s3
	v_add_co_u32_e32 v2, vcc, s2, v2
	v_addc_co_u32_e32 v3, vcc, 0, v3, vcc
	v_lshlrev_b32_e32 v4, 2, v8
	v_add_co_u32_e32 v6, vcc, v2, v4
	v_addc_co_u32_e32 v7, vcc, 0, v3, vcc
	global_load_dword v2, v[6:7], off
	global_load_dword v3, v[6:7], off offset:256
	global_load_dword v4, v[6:7], off offset:512
	;; [unrolled: 1-line block ×3, first 2 shown]
	v_or_b32_e32 v9, v10, v8
	v_lshrrev_b32_e32 v6, 3, v9
	v_lshlrev_b32_e32 v11, 2, v9
	v_add_u32_e32 v7, 64, v9
	v_or_b32_e32 v8, 0x80, v9
	v_add_u32_e32 v9, 0xc0, v9
	v_and_b32_e32 v0, 0xc0, v0
	v_lshrrev_b32_e32 v7, 3, v7
	v_lshrrev_b32_e32 v8, 3, v8
	v_lshrrev_b32_e32 v9, 3, v9
	v_add_u32_e32 v0, v10, v0
	v_and_b32_e32 v6, 0x6c, v6
	v_and_b32_e32 v7, 0x7c, v7
	;; [unrolled: 1-line block ×4, first 2 shown]
	v_lshlrev_b32_e32 v10, 2, v0
	v_bfe_u32 v0, v0, 3, 27
	v_add_u32_e32 v6, v6, v11
	v_add_u32_e32 v7, v7, v11
	;; [unrolled: 1-line block ×4, first 2 shown]
	v_add_lshl_u32 v0, v0, v10, 2
	s_movk_i32 s2, 0x64
.LBB93_1:                               ; =>This Inner Loop Header: Depth=1
	s_waitcnt vmcnt(3)
	ds_write_b32 v6, v2
	s_waitcnt vmcnt(2)
	ds_write_b32 v7, v3 offset:256
	s_waitcnt vmcnt(1)
	ds_write_b32 v8, v4 offset:512
	;; [unrolled: 2-line block ×3, first 2 shown]
	; wave barrier
	ds_read2_b32 v[2:3], v0 offset1:1
	ds_read2_b32 v[4:5], v0 offset0:2 offset1:3
	s_add_i32 s2, s2, -1
	s_cmp_lg_u32 s2, 0
	s_waitcnt lgkmcnt(0)
	s_barrier
	s_cbranch_scc1 .LBB93_1
; %bb.2:
	s_load_dwordx2 s[2:3], s[4:5], 0x10
	v_lshlrev_b32_e32 v0, 2, v1
	s_waitcnt lgkmcnt(0)
	s_add_u32 s0, s2, s0
	s_addc_u32 s1, s3, s1
	global_store_dwordx4 v0, v[2:5], s[0:1]
	s_endpgm
	.section	.rodata,"a",@progbits
	.p2align	6, 0x0
	.amdhsa_kernel _Z6kernelI23warp_striped_to_blockediLj256ELj4ELj100EEvPKT0_PKjPS1_
		.amdhsa_group_segment_fixed_size 4224
		.amdhsa_private_segment_fixed_size 0
		.amdhsa_kernarg_size 24
		.amdhsa_user_sgpr_count 6
		.amdhsa_user_sgpr_private_segment_buffer 1
		.amdhsa_user_sgpr_dispatch_ptr 0
		.amdhsa_user_sgpr_queue_ptr 0
		.amdhsa_user_sgpr_kernarg_segment_ptr 1
		.amdhsa_user_sgpr_dispatch_id 0
		.amdhsa_user_sgpr_flat_scratch_init 0
		.amdhsa_user_sgpr_kernarg_preload_length 0
		.amdhsa_user_sgpr_kernarg_preload_offset 0
		.amdhsa_user_sgpr_private_segment_size 0
		.amdhsa_uses_dynamic_stack 0
		.amdhsa_system_sgpr_private_segment_wavefront_offset 0
		.amdhsa_system_sgpr_workgroup_id_x 1
		.amdhsa_system_sgpr_workgroup_id_y 0
		.amdhsa_system_sgpr_workgroup_id_z 0
		.amdhsa_system_sgpr_workgroup_info 0
		.amdhsa_system_vgpr_workitem_id 0
		.amdhsa_next_free_vgpr 12
		.amdhsa_next_free_sgpr 7
		.amdhsa_accum_offset 12
		.amdhsa_reserve_vcc 1
		.amdhsa_reserve_flat_scratch 0
		.amdhsa_float_round_mode_32 0
		.amdhsa_float_round_mode_16_64 0
		.amdhsa_float_denorm_mode_32 3
		.amdhsa_float_denorm_mode_16_64 3
		.amdhsa_dx10_clamp 1
		.amdhsa_ieee_mode 1
		.amdhsa_fp16_overflow 0
		.amdhsa_tg_split 0
		.amdhsa_exception_fp_ieee_invalid_op 0
		.amdhsa_exception_fp_denorm_src 0
		.amdhsa_exception_fp_ieee_div_zero 0
		.amdhsa_exception_fp_ieee_overflow 0
		.amdhsa_exception_fp_ieee_underflow 0
		.amdhsa_exception_fp_ieee_inexact 0
		.amdhsa_exception_int_div_zero 0
	.end_amdhsa_kernel
	.section	.text._Z6kernelI23warp_striped_to_blockediLj256ELj4ELj100EEvPKT0_PKjPS1_,"axG",@progbits,_Z6kernelI23warp_striped_to_blockediLj256ELj4ELj100EEvPKT0_PKjPS1_,comdat
.Lfunc_end93:
	.size	_Z6kernelI23warp_striped_to_blockediLj256ELj4ELj100EEvPKT0_PKjPS1_, .Lfunc_end93-_Z6kernelI23warp_striped_to_blockediLj256ELj4ELj100EEvPKT0_PKjPS1_
                                        ; -- End function
	.section	.AMDGPU.csdata,"",@progbits
; Kernel info:
; codeLenInByte = 368
; NumSgprs: 11
; NumVgprs: 12
; NumAgprs: 0
; TotalNumVgprs: 12
; ScratchSize: 0
; MemoryBound: 0
; FloatMode: 240
; IeeeMode: 1
; LDSByteSize: 4224 bytes/workgroup (compile time only)
; SGPRBlocks: 1
; VGPRBlocks: 1
; NumSGPRsForWavesPerEU: 11
; NumVGPRsForWavesPerEU: 12
; AccumOffset: 12
; Occupancy: 8
; WaveLimiterHint : 1
; COMPUTE_PGM_RSRC2:SCRATCH_EN: 0
; COMPUTE_PGM_RSRC2:USER_SGPR: 6
; COMPUTE_PGM_RSRC2:TRAP_HANDLER: 0
; COMPUTE_PGM_RSRC2:TGID_X_EN: 1
; COMPUTE_PGM_RSRC2:TGID_Y_EN: 0
; COMPUTE_PGM_RSRC2:TGID_Z_EN: 0
; COMPUTE_PGM_RSRC2:TIDIG_COMP_CNT: 0
; COMPUTE_PGM_RSRC3_GFX90A:ACCUM_OFFSET: 2
; COMPUTE_PGM_RSRC3_GFX90A:TG_SPLIT: 0
	.section	.text._Z6kernelI23warp_striped_to_blockediLj256ELj7ELj100EEvPKT0_PKjPS1_,"axG",@progbits,_Z6kernelI23warp_striped_to_blockediLj256ELj7ELj100EEvPKT0_PKjPS1_,comdat
	.protected	_Z6kernelI23warp_striped_to_blockediLj256ELj7ELj100EEvPKT0_PKjPS1_ ; -- Begin function _Z6kernelI23warp_striped_to_blockediLj256ELj7ELj100EEvPKT0_PKjPS1_
	.globl	_Z6kernelI23warp_striped_to_blockediLj256ELj7ELj100EEvPKT0_PKjPS1_
	.p2align	8
	.type	_Z6kernelI23warp_striped_to_blockediLj256ELj7ELj100EEvPKT0_PKjPS1_,@function
_Z6kernelI23warp_striped_to_blockediLj256ELj7ELj100EEvPKT0_PKjPS1_: ; @_Z6kernelI23warp_striped_to_blockediLj256ELj7ELj100EEvPKT0_PKjPS1_
; %bb.0:
	s_load_dwordx2 s[2:3], s[4:5], 0x0
	s_mul_i32 s0, s6, 0x700
	s_mov_b32 s1, 0
	s_lshl_b64 s[0:1], s[0:1], 2
	v_mbcnt_lo_u32_b32 v1, -1, 0
	s_waitcnt lgkmcnt(0)
	s_add_u32 s2, s2, s0
	v_mbcnt_hi_u32_b32 v9, -1, v1
	s_addc_u32 s3, s3, s1
	v_and_b32_e32 v1, 0xc0, v0
	v_lshlrev_b32_e32 v12, 2, v9
	v_mul_u32_u24_e32 v1, 7, v1
	v_mov_b32_e32 v2, s3
	v_add_co_u32_e32 v3, vcc, s2, v12
	v_addc_co_u32_e32 v2, vcc, 0, v2, vcc
	v_lshlrev_b32_e32 v1, 2, v1
	v_add_co_u32_e32 v10, vcc, v3, v1
	v_addc_co_u32_e32 v11, vcc, 0, v2, vcc
	global_load_dword v2, v[10:11], off
	global_load_dword v3, v[10:11], off offset:256
	global_load_dword v4, v[10:11], off offset:512
	;; [unrolled: 1-line block ×6, first 2 shown]
	v_lshrrev_b32_e32 v1, 6, v0
	v_mul_u32_u24_e32 v10, 0x1c0, v1
	v_mul_u32_u24_e32 v9, 7, v9
	v_lshl_add_u32 v1, v10, 2, v12
	v_add_lshl_u32 v9, v9, v10, 2
	s_movk_i32 s2, 0x64
.LBB94_1:                               ; =>This Inner Loop Header: Depth=1
	s_waitcnt vmcnt(5)
	ds_write2st64_b32 v1, v2, v3 offset1:1
	s_waitcnt vmcnt(3)
	ds_write2st64_b32 v1, v4, v5 offset0:2 offset1:3
	s_waitcnt vmcnt(1)
	ds_write2st64_b32 v1, v6, v7 offset0:4 offset1:5
	s_waitcnt vmcnt(0)
	ds_write_b32 v1, v8 offset:1536
	; wave barrier
	ds_read2_b32 v[2:3], v9 offset1:1
	ds_read2_b32 v[4:5], v9 offset0:2 offset1:3
	ds_read2_b32 v[6:7], v9 offset0:4 offset1:5
	ds_read_b32 v8, v9 offset:24
	s_add_i32 s2, s2, -1
	s_cmp_lg_u32 s2, 0
	s_waitcnt lgkmcnt(0)
	s_barrier
	s_cbranch_scc1 .LBB94_1
; %bb.2:
	s_load_dwordx2 s[2:3], s[4:5], 0x10
	v_mul_u32_u24_e32 v0, 7, v0
	v_lshlrev_b32_e32 v0, 2, v0
	s_waitcnt lgkmcnt(0)
	s_add_u32 s0, s2, s0
	s_addc_u32 s1, s3, s1
	global_store_dwordx4 v0, v[2:5], s[0:1]
	global_store_dwordx3 v0, v[6:8], s[0:1] offset:16
	s_endpgm
	.section	.rodata,"a",@progbits
	.p2align	6, 0x0
	.amdhsa_kernel _Z6kernelI23warp_striped_to_blockediLj256ELj7ELj100EEvPKT0_PKjPS1_
		.amdhsa_group_segment_fixed_size 7168
		.amdhsa_private_segment_fixed_size 0
		.amdhsa_kernarg_size 24
		.amdhsa_user_sgpr_count 6
		.amdhsa_user_sgpr_private_segment_buffer 1
		.amdhsa_user_sgpr_dispatch_ptr 0
		.amdhsa_user_sgpr_queue_ptr 0
		.amdhsa_user_sgpr_kernarg_segment_ptr 1
		.amdhsa_user_sgpr_dispatch_id 0
		.amdhsa_user_sgpr_flat_scratch_init 0
		.amdhsa_user_sgpr_kernarg_preload_length 0
		.amdhsa_user_sgpr_kernarg_preload_offset 0
		.amdhsa_user_sgpr_private_segment_size 0
		.amdhsa_uses_dynamic_stack 0
		.amdhsa_system_sgpr_private_segment_wavefront_offset 0
		.amdhsa_system_sgpr_workgroup_id_x 1
		.amdhsa_system_sgpr_workgroup_id_y 0
		.amdhsa_system_sgpr_workgroup_id_z 0
		.amdhsa_system_sgpr_workgroup_info 0
		.amdhsa_system_vgpr_workitem_id 0
		.amdhsa_next_free_vgpr 13
		.amdhsa_next_free_sgpr 7
		.amdhsa_accum_offset 16
		.amdhsa_reserve_vcc 1
		.amdhsa_reserve_flat_scratch 0
		.amdhsa_float_round_mode_32 0
		.amdhsa_float_round_mode_16_64 0
		.amdhsa_float_denorm_mode_32 3
		.amdhsa_float_denorm_mode_16_64 3
		.amdhsa_dx10_clamp 1
		.amdhsa_ieee_mode 1
		.amdhsa_fp16_overflow 0
		.amdhsa_tg_split 0
		.amdhsa_exception_fp_ieee_invalid_op 0
		.amdhsa_exception_fp_denorm_src 0
		.amdhsa_exception_fp_ieee_div_zero 0
		.amdhsa_exception_fp_ieee_overflow 0
		.amdhsa_exception_fp_ieee_underflow 0
		.amdhsa_exception_fp_ieee_inexact 0
		.amdhsa_exception_int_div_zero 0
	.end_amdhsa_kernel
	.section	.text._Z6kernelI23warp_striped_to_blockediLj256ELj7ELj100EEvPKT0_PKjPS1_,"axG",@progbits,_Z6kernelI23warp_striped_to_blockediLj256ELj7ELj100EEvPKT0_PKjPS1_,comdat
.Lfunc_end94:
	.size	_Z6kernelI23warp_striped_to_blockediLj256ELj7ELj100EEvPKT0_PKjPS1_, .Lfunc_end94-_Z6kernelI23warp_striped_to_blockediLj256ELj7ELj100EEvPKT0_PKjPS1_
                                        ; -- End function
	.section	.AMDGPU.csdata,"",@progbits
; Kernel info:
; codeLenInByte = 332
; NumSgprs: 11
; NumVgprs: 13
; NumAgprs: 0
; TotalNumVgprs: 13
; ScratchSize: 0
; MemoryBound: 0
; FloatMode: 240
; IeeeMode: 1
; LDSByteSize: 7168 bytes/workgroup (compile time only)
; SGPRBlocks: 1
; VGPRBlocks: 1
; NumSGPRsForWavesPerEU: 11
; NumVGPRsForWavesPerEU: 13
; AccumOffset: 16
; Occupancy: 8
; WaveLimiterHint : 1
; COMPUTE_PGM_RSRC2:SCRATCH_EN: 0
; COMPUTE_PGM_RSRC2:USER_SGPR: 6
; COMPUTE_PGM_RSRC2:TRAP_HANDLER: 0
; COMPUTE_PGM_RSRC2:TGID_X_EN: 1
; COMPUTE_PGM_RSRC2:TGID_Y_EN: 0
; COMPUTE_PGM_RSRC2:TGID_Z_EN: 0
; COMPUTE_PGM_RSRC2:TIDIG_COMP_CNT: 0
; COMPUTE_PGM_RSRC3_GFX90A:ACCUM_OFFSET: 3
; COMPUTE_PGM_RSRC3_GFX90A:TG_SPLIT: 0
	.section	.text._Z6kernelI23warp_striped_to_blockediLj256ELj8ELj100EEvPKT0_PKjPS1_,"axG",@progbits,_Z6kernelI23warp_striped_to_blockediLj256ELj8ELj100EEvPKT0_PKjPS1_,comdat
	.protected	_Z6kernelI23warp_striped_to_blockediLj256ELj8ELj100EEvPKT0_PKjPS1_ ; -- Begin function _Z6kernelI23warp_striped_to_blockediLj256ELj8ELj100EEvPKT0_PKjPS1_
	.globl	_Z6kernelI23warp_striped_to_blockediLj256ELj8ELj100EEvPKT0_PKjPS1_
	.p2align	8
	.type	_Z6kernelI23warp_striped_to_blockediLj256ELj8ELj100EEvPKT0_PKjPS1_,@function
_Z6kernelI23warp_striped_to_blockediLj256ELj8ELj100EEvPKT0_PKjPS1_: ; @_Z6kernelI23warp_striped_to_blockediLj256ELj8ELj100EEvPKT0_PKjPS1_
; %bb.0:
	s_load_dwordx2 s[2:3], s[4:5], 0x0
	s_lshl_b32 s0, s6, 11
	s_mov_b32 s1, 0
	s_lshl_b64 s[0:1], s[0:1], 2
	v_mbcnt_lo_u32_b32 v1, -1, 0
	s_waitcnt lgkmcnt(0)
	s_add_u32 s2, s2, s0
	v_mbcnt_hi_u32_b32 v18, -1, v1
	s_addc_u32 s3, s3, s1
	v_lshlrev_b32_e32 v1, 3, v0
	v_lshlrev_b32_e32 v2, 2, v18
	v_and_b32_e32 v12, 0x600, v1
	v_mov_b32_e32 v3, s3
	v_add_co_u32_e32 v2, vcc, s2, v2
	v_addc_co_u32_e32 v3, vcc, 0, v3, vcc
	v_lshlrev_b32_e32 v4, 2, v12
	v_add_co_u32_e32 v10, vcc, v2, v4
	v_addc_co_u32_e32 v11, vcc, 0, v3, vcc
	global_load_dword v6, v[10:11], off
	global_load_dword v7, v[10:11], off offset:256
	global_load_dword v8, v[10:11], off offset:512
	;; [unrolled: 1-line block ×7, first 2 shown]
	v_or_b32_e32 v17, v18, v12
	v_lshrrev_b32_e32 v10, 3, v17
	v_lshlrev_b32_e32 v19, 2, v17
	v_add_u32_e32 v11, 64, v17
	v_or_b32_e32 v12, 0x80, v17
	v_add_u32_e32 v13, 0xc0, v17
	v_or_b32_e32 v14, 0x100, v17
	;; [unrolled: 2-line block ×3, first 2 shown]
	v_add_u32_e32 v17, 0x1c0, v17
	v_and_b32_e32 v0, 0xc0, v0
	v_lshrrev_b32_e32 v11, 3, v11
	v_lshrrev_b32_e32 v12, 3, v12
	v_lshrrev_b32_e32 v13, 3, v13
	v_lshrrev_b32_e32 v14, 3, v14
	v_lshrrev_b32_e32 v15, 3, v15
	v_lshrrev_b32_e32 v16, 3, v16
	v_lshrrev_b32_e32 v17, 3, v17
	v_add_u32_e32 v0, v18, v0
	v_and_b32_e32 v10, 0xcc, v10
	v_and_b32_e32 v11, 0xdc, v11
	;; [unrolled: 1-line block ×8, first 2 shown]
	v_lshlrev_b32_e32 v18, 3, v0
	v_bfe_u32 v0, v0, 2, 27
	v_add_u32_e32 v10, v10, v19
	v_add_u32_e32 v11, v11, v19
	;; [unrolled: 1-line block ×8, first 2 shown]
	v_add_lshl_u32 v0, v0, v18, 2
	s_movk_i32 s2, 0x64
.LBB95_1:                               ; =>This Inner Loop Header: Depth=1
	s_waitcnt vmcnt(7)
	ds_write_b32 v10, v6
	s_waitcnt vmcnt(6)
	ds_write_b32 v11, v7 offset:256
	s_waitcnt vmcnt(5)
	ds_write_b32 v12, v8 offset:512
	;; [unrolled: 2-line block ×7, first 2 shown]
	; wave barrier
	ds_read2_b32 v[6:7], v0 offset1:1
	ds_read2_b32 v[8:9], v0 offset0:2 offset1:3
	ds_read2_b32 v[2:3], v0 offset0:4 offset1:5
	;; [unrolled: 1-line block ×3, first 2 shown]
	s_add_i32 s2, s2, -1
	s_cmp_lg_u32 s2, 0
	s_waitcnt lgkmcnt(0)
	s_barrier
	s_cbranch_scc1 .LBB95_1
; %bb.2:
	s_load_dwordx2 s[2:3], s[4:5], 0x10
	v_lshlrev_b32_e32 v0, 2, v1
	s_waitcnt lgkmcnt(0)
	s_add_u32 s0, s2, s0
	s_addc_u32 s1, s3, s1
	global_store_dwordx4 v0, v[6:9], s[0:1]
	global_store_dwordx4 v0, v[2:5], s[0:1] offset:16
	s_endpgm
	.section	.rodata,"a",@progbits
	.p2align	6, 0x0
	.amdhsa_kernel _Z6kernelI23warp_striped_to_blockediLj256ELj8ELj100EEvPKT0_PKjPS1_
		.amdhsa_group_segment_fixed_size 8448
		.amdhsa_private_segment_fixed_size 0
		.amdhsa_kernarg_size 24
		.amdhsa_user_sgpr_count 6
		.amdhsa_user_sgpr_private_segment_buffer 1
		.amdhsa_user_sgpr_dispatch_ptr 0
		.amdhsa_user_sgpr_queue_ptr 0
		.amdhsa_user_sgpr_kernarg_segment_ptr 1
		.amdhsa_user_sgpr_dispatch_id 0
		.amdhsa_user_sgpr_flat_scratch_init 0
		.amdhsa_user_sgpr_kernarg_preload_length 0
		.amdhsa_user_sgpr_kernarg_preload_offset 0
		.amdhsa_user_sgpr_private_segment_size 0
		.amdhsa_uses_dynamic_stack 0
		.amdhsa_system_sgpr_private_segment_wavefront_offset 0
		.amdhsa_system_sgpr_workgroup_id_x 1
		.amdhsa_system_sgpr_workgroup_id_y 0
		.amdhsa_system_sgpr_workgroup_id_z 0
		.amdhsa_system_sgpr_workgroup_info 0
		.amdhsa_system_vgpr_workitem_id 0
		.amdhsa_next_free_vgpr 20
		.amdhsa_next_free_sgpr 7
		.amdhsa_accum_offset 20
		.amdhsa_reserve_vcc 1
		.amdhsa_reserve_flat_scratch 0
		.amdhsa_float_round_mode_32 0
		.amdhsa_float_round_mode_16_64 0
		.amdhsa_float_denorm_mode_32 3
		.amdhsa_float_denorm_mode_16_64 3
		.amdhsa_dx10_clamp 1
		.amdhsa_ieee_mode 1
		.amdhsa_fp16_overflow 0
		.amdhsa_tg_split 0
		.amdhsa_exception_fp_ieee_invalid_op 0
		.amdhsa_exception_fp_denorm_src 0
		.amdhsa_exception_fp_ieee_div_zero 0
		.amdhsa_exception_fp_ieee_overflow 0
		.amdhsa_exception_fp_ieee_underflow 0
		.amdhsa_exception_fp_ieee_inexact 0
		.amdhsa_exception_int_div_zero 0
	.end_amdhsa_kernel
	.section	.text._Z6kernelI23warp_striped_to_blockediLj256ELj8ELj100EEvPKT0_PKjPS1_,"axG",@progbits,_Z6kernelI23warp_striped_to_blockediLj256ELj8ELj100EEvPKT0_PKjPS1_,comdat
.Lfunc_end95:
	.size	_Z6kernelI23warp_striped_to_blockediLj256ELj8ELj100EEvPKT0_PKjPS1_, .Lfunc_end95-_Z6kernelI23warp_striped_to_blockediLj256ELj8ELj100EEvPKT0_PKjPS1_
                                        ; -- End function
	.section	.AMDGPU.csdata,"",@progbits
; Kernel info:
; codeLenInByte = 568
; NumSgprs: 11
; NumVgprs: 20
; NumAgprs: 0
; TotalNumVgprs: 20
; ScratchSize: 0
; MemoryBound: 0
; FloatMode: 240
; IeeeMode: 1
; LDSByteSize: 8448 bytes/workgroup (compile time only)
; SGPRBlocks: 1
; VGPRBlocks: 2
; NumSGPRsForWavesPerEU: 11
; NumVGPRsForWavesPerEU: 20
; AccumOffset: 20
; Occupancy: 7
; WaveLimiterHint : 1
; COMPUTE_PGM_RSRC2:SCRATCH_EN: 0
; COMPUTE_PGM_RSRC2:USER_SGPR: 6
; COMPUTE_PGM_RSRC2:TRAP_HANDLER: 0
; COMPUTE_PGM_RSRC2:TGID_X_EN: 1
; COMPUTE_PGM_RSRC2:TGID_Y_EN: 0
; COMPUTE_PGM_RSRC2:TGID_Z_EN: 0
; COMPUTE_PGM_RSRC2:TIDIG_COMP_CNT: 0
; COMPUTE_PGM_RSRC3_GFX90A:ACCUM_OFFSET: 4
; COMPUTE_PGM_RSRC3_GFX90A:TG_SPLIT: 0
	.section	.text._Z6kernelI23warp_striped_to_blockedaLj256ELj1ELj100EEvPKT0_PKjPS1_,"axG",@progbits,_Z6kernelI23warp_striped_to_blockedaLj256ELj1ELj100EEvPKT0_PKjPS1_,comdat
	.protected	_Z6kernelI23warp_striped_to_blockedaLj256ELj1ELj100EEvPKT0_PKjPS1_ ; -- Begin function _Z6kernelI23warp_striped_to_blockedaLj256ELj1ELj100EEvPKT0_PKjPS1_
	.globl	_Z6kernelI23warp_striped_to_blockedaLj256ELj1ELj100EEvPKT0_PKjPS1_
	.p2align	8
	.type	_Z6kernelI23warp_striped_to_blockedaLj256ELj1ELj100EEvPKT0_PKjPS1_,@function
_Z6kernelI23warp_striped_to_blockedaLj256ELj1ELj100EEvPKT0_PKjPS1_: ; @_Z6kernelI23warp_striped_to_blockedaLj256ELj1ELj100EEvPKT0_PKjPS1_
; %bb.0:
	s_load_dwordx2 s[2:3], s[4:5], 0x0
	s_lshl_b32 s0, s6, 8
	v_mbcnt_lo_u32_b32 v1, -1, 0
	v_mbcnt_hi_u32_b32 v4, -1, v1
	v_and_b32_e32 v5, 0xc0, v0
	s_waitcnt lgkmcnt(0)
	s_add_u32 s1, s2, s0
	s_addc_u32 s2, s3, 0
	v_mov_b32_e32 v1, s2
	v_add_co_u32_e32 v2, vcc, s1, v4
	v_addc_co_u32_e32 v1, vcc, 0, v1, vcc
	v_add_co_u32_e32 v2, vcc, v2, v5
	v_addc_co_u32_e32 v3, vcc, 0, v1, vcc
	global_load_ubyte v1, v[2:3], off
	s_movk_i32 s1, 0x64
	v_add_u32_e32 v2, v4, v5
.LBB96_1:                               ; =>This Inner Loop Header: Depth=1
	s_waitcnt vmcnt(0)
	ds_write_b8 v2, v1
	; wave barrier
	ds_read_u8 v1, v2
	s_add_i32 s1, s1, -1
	s_cmp_lg_u32 s1, 0
	s_waitcnt lgkmcnt(0)
	s_barrier
	s_cbranch_scc1 .LBB96_1
; %bb.2:
	s_load_dwordx2 s[2:3], s[4:5], 0x10
	s_waitcnt lgkmcnt(0)
	s_add_u32 s0, s2, s0
	s_addc_u32 s1, s3, 0
	global_store_byte v0, v1, s[0:1]
	s_endpgm
	.section	.rodata,"a",@progbits
	.p2align	6, 0x0
	.amdhsa_kernel _Z6kernelI23warp_striped_to_blockedaLj256ELj1ELj100EEvPKT0_PKjPS1_
		.amdhsa_group_segment_fixed_size 256
		.amdhsa_private_segment_fixed_size 0
		.amdhsa_kernarg_size 24
		.amdhsa_user_sgpr_count 6
		.amdhsa_user_sgpr_private_segment_buffer 1
		.amdhsa_user_sgpr_dispatch_ptr 0
		.amdhsa_user_sgpr_queue_ptr 0
		.amdhsa_user_sgpr_kernarg_segment_ptr 1
		.amdhsa_user_sgpr_dispatch_id 0
		.amdhsa_user_sgpr_flat_scratch_init 0
		.amdhsa_user_sgpr_kernarg_preload_length 0
		.amdhsa_user_sgpr_kernarg_preload_offset 0
		.amdhsa_user_sgpr_private_segment_size 0
		.amdhsa_uses_dynamic_stack 0
		.amdhsa_system_sgpr_private_segment_wavefront_offset 0
		.amdhsa_system_sgpr_workgroup_id_x 1
		.amdhsa_system_sgpr_workgroup_id_y 0
		.amdhsa_system_sgpr_workgroup_id_z 0
		.amdhsa_system_sgpr_workgroup_info 0
		.amdhsa_system_vgpr_workitem_id 0
		.amdhsa_next_free_vgpr 6
		.amdhsa_next_free_sgpr 7
		.amdhsa_accum_offset 8
		.amdhsa_reserve_vcc 1
		.amdhsa_reserve_flat_scratch 0
		.amdhsa_float_round_mode_32 0
		.amdhsa_float_round_mode_16_64 0
		.amdhsa_float_denorm_mode_32 3
		.amdhsa_float_denorm_mode_16_64 3
		.amdhsa_dx10_clamp 1
		.amdhsa_ieee_mode 1
		.amdhsa_fp16_overflow 0
		.amdhsa_tg_split 0
		.amdhsa_exception_fp_ieee_invalid_op 0
		.amdhsa_exception_fp_denorm_src 0
		.amdhsa_exception_fp_ieee_div_zero 0
		.amdhsa_exception_fp_ieee_overflow 0
		.amdhsa_exception_fp_ieee_underflow 0
		.amdhsa_exception_fp_ieee_inexact 0
		.amdhsa_exception_int_div_zero 0
	.end_amdhsa_kernel
	.section	.text._Z6kernelI23warp_striped_to_blockedaLj256ELj1ELj100EEvPKT0_PKjPS1_,"axG",@progbits,_Z6kernelI23warp_striped_to_blockedaLj256ELj1ELj100EEvPKT0_PKjPS1_,comdat
.Lfunc_end96:
	.size	_Z6kernelI23warp_striped_to_blockedaLj256ELj1ELj100EEvPKT0_PKjPS1_, .Lfunc_end96-_Z6kernelI23warp_striped_to_blockedaLj256ELj1ELj100EEvPKT0_PKjPS1_
                                        ; -- End function
	.section	.AMDGPU.csdata,"",@progbits
; Kernel info:
; codeLenInByte = 156
; NumSgprs: 11
; NumVgprs: 6
; NumAgprs: 0
; TotalNumVgprs: 6
; ScratchSize: 0
; MemoryBound: 0
; FloatMode: 240
; IeeeMode: 1
; LDSByteSize: 256 bytes/workgroup (compile time only)
; SGPRBlocks: 1
; VGPRBlocks: 0
; NumSGPRsForWavesPerEU: 11
; NumVGPRsForWavesPerEU: 6
; AccumOffset: 8
; Occupancy: 8
; WaveLimiterHint : 0
; COMPUTE_PGM_RSRC2:SCRATCH_EN: 0
; COMPUTE_PGM_RSRC2:USER_SGPR: 6
; COMPUTE_PGM_RSRC2:TRAP_HANDLER: 0
; COMPUTE_PGM_RSRC2:TGID_X_EN: 1
; COMPUTE_PGM_RSRC2:TGID_Y_EN: 0
; COMPUTE_PGM_RSRC2:TGID_Z_EN: 0
; COMPUTE_PGM_RSRC2:TIDIG_COMP_CNT: 0
; COMPUTE_PGM_RSRC3_GFX90A:ACCUM_OFFSET: 1
; COMPUTE_PGM_RSRC3_GFX90A:TG_SPLIT: 0
	.section	.text._Z6kernelI23warp_striped_to_blockedaLj256ELj2ELj100EEvPKT0_PKjPS1_,"axG",@progbits,_Z6kernelI23warp_striped_to_blockedaLj256ELj2ELj100EEvPKT0_PKjPS1_,comdat
	.protected	_Z6kernelI23warp_striped_to_blockedaLj256ELj2ELj100EEvPKT0_PKjPS1_ ; -- Begin function _Z6kernelI23warp_striped_to_blockedaLj256ELj2ELj100EEvPKT0_PKjPS1_
	.globl	_Z6kernelI23warp_striped_to_blockedaLj256ELj2ELj100EEvPKT0_PKjPS1_
	.p2align	8
	.type	_Z6kernelI23warp_striped_to_blockedaLj256ELj2ELj100EEvPKT0_PKjPS1_,@function
_Z6kernelI23warp_striped_to_blockedaLj256ELj2ELj100EEvPKT0_PKjPS1_: ; @_Z6kernelI23warp_striped_to_blockedaLj256ELj2ELj100EEvPKT0_PKjPS1_
; %bb.0:
	s_load_dwordx2 s[2:3], s[4:5], 0x0
	s_lshl_b32 s0, s6, 9
	v_mbcnt_lo_u32_b32 v1, -1, 0
	v_mbcnt_hi_u32_b32 v4, -1, v1
	v_lshlrev_b32_e32 v1, 1, v0
	s_waitcnt lgkmcnt(0)
	s_add_u32 s1, s2, s0
	s_addc_u32 s2, s3, 0
	v_mov_b32_e32 v2, s2
	v_add_co_u32_e32 v3, vcc, s1, v4
	v_and_b32_e32 v5, 0x180, v1
	v_addc_co_u32_e32 v6, vcc, 0, v2, vcc
	v_add_co_u32_e32 v2, vcc, v3, v5
	v_addc_co_u32_e32 v3, vcc, 0, v6, vcc
	global_load_ubyte v6, v[2:3], off offset:64
	global_load_ubyte v7, v[2:3], off
	v_and_b32_e32 v0, 0xc0, v0
	v_add_u32_e32 v0, v4, v0
	v_or_b32_e32 v4, v4, v5
	v_lshrrev_b32_e32 v3, 4, v0
	v_lshrrev_b32_e32 v2, 5, v5
	v_add_u32_e32 v5, 64, v4
	v_and_b32_e32 v3, 28, v3
	v_lshrrev_b32_e32 v5, 5, v5
	v_lshl_add_u32 v3, v0, 1, v3
	v_and_b32_e32 v5, 28, v5
	s_movk_i32 s1, 0x64
	v_add_u32_e32 v2, v2, v4
	v_add_u32_e32 v4, v5, v4
	s_waitcnt vmcnt(1)
	v_lshlrev_b16_e32 v0, 8, v6
	s_waitcnt vmcnt(0)
	v_or_b32_e32 v0, v7, v0
	v_and_b32_e32 v0, 0xffff, v0
.LBB97_1:                               ; =>This Inner Loop Header: Depth=1
	ds_write_b8 v2, v0
	v_lshrrev_b16_e32 v0, 8, v0
	ds_write_b8 v4, v0 offset:64
	; wave barrier
	ds_read_u16 v0, v3
	s_add_i32 s1, s1, -1
	s_cmp_lg_u32 s1, 0
	s_waitcnt lgkmcnt(0)
	s_barrier
	s_cbranch_scc1 .LBB97_1
; %bb.2:
	s_load_dwordx2 s[2:3], s[4:5], 0x10
	v_lshrrev_b16_e32 v2, 8, v0
	v_lshlrev_b16_e32 v2, 8, v2
	v_or_b32_sdwa v0, v0, v2 dst_sel:DWORD dst_unused:UNUSED_PAD src0_sel:BYTE_0 src1_sel:DWORD
	s_waitcnt lgkmcnt(0)
	s_add_u32 s0, s2, s0
	s_addc_u32 s1, s3, 0
	global_store_short v1, v0, s[0:1]
	s_endpgm
	.section	.rodata,"a",@progbits
	.p2align	6, 0x0
	.amdhsa_kernel _Z6kernelI23warp_striped_to_blockedaLj256ELj2ELj100EEvPKT0_PKjPS1_
		.amdhsa_group_segment_fixed_size 528
		.amdhsa_private_segment_fixed_size 0
		.amdhsa_kernarg_size 24
		.amdhsa_user_sgpr_count 6
		.amdhsa_user_sgpr_private_segment_buffer 1
		.amdhsa_user_sgpr_dispatch_ptr 0
		.amdhsa_user_sgpr_queue_ptr 0
		.amdhsa_user_sgpr_kernarg_segment_ptr 1
		.amdhsa_user_sgpr_dispatch_id 0
		.amdhsa_user_sgpr_flat_scratch_init 0
		.amdhsa_user_sgpr_kernarg_preload_length 0
		.amdhsa_user_sgpr_kernarg_preload_offset 0
		.amdhsa_user_sgpr_private_segment_size 0
		.amdhsa_uses_dynamic_stack 0
		.amdhsa_system_sgpr_private_segment_wavefront_offset 0
		.amdhsa_system_sgpr_workgroup_id_x 1
		.amdhsa_system_sgpr_workgroup_id_y 0
		.amdhsa_system_sgpr_workgroup_id_z 0
		.amdhsa_system_sgpr_workgroup_info 0
		.amdhsa_system_vgpr_workitem_id 0
		.amdhsa_next_free_vgpr 8
		.amdhsa_next_free_sgpr 7
		.amdhsa_accum_offset 8
		.amdhsa_reserve_vcc 1
		.amdhsa_reserve_flat_scratch 0
		.amdhsa_float_round_mode_32 0
		.amdhsa_float_round_mode_16_64 0
		.amdhsa_float_denorm_mode_32 3
		.amdhsa_float_denorm_mode_16_64 3
		.amdhsa_dx10_clamp 1
		.amdhsa_ieee_mode 1
		.amdhsa_fp16_overflow 0
		.amdhsa_tg_split 0
		.amdhsa_exception_fp_ieee_invalid_op 0
		.amdhsa_exception_fp_denorm_src 0
		.amdhsa_exception_fp_ieee_div_zero 0
		.amdhsa_exception_fp_ieee_overflow 0
		.amdhsa_exception_fp_ieee_underflow 0
		.amdhsa_exception_fp_ieee_inexact 0
		.amdhsa_exception_int_div_zero 0
	.end_amdhsa_kernel
	.section	.text._Z6kernelI23warp_striped_to_blockedaLj256ELj2ELj100EEvPKT0_PKjPS1_,"axG",@progbits,_Z6kernelI23warp_striped_to_blockedaLj256ELj2ELj100EEvPKT0_PKjPS1_,comdat
.Lfunc_end97:
	.size	_Z6kernelI23warp_striped_to_blockedaLj256ELj2ELj100EEvPKT0_PKjPS1_, .Lfunc_end97-_Z6kernelI23warp_striped_to_blockedaLj256ELj2ELj100EEvPKT0_PKjPS1_
                                        ; -- End function
	.section	.AMDGPU.csdata,"",@progbits
; Kernel info:
; codeLenInByte = 268
; NumSgprs: 11
; NumVgprs: 8
; NumAgprs: 0
; TotalNumVgprs: 8
; ScratchSize: 0
; MemoryBound: 0
; FloatMode: 240
; IeeeMode: 1
; LDSByteSize: 528 bytes/workgroup (compile time only)
; SGPRBlocks: 1
; VGPRBlocks: 0
; NumSGPRsForWavesPerEU: 11
; NumVGPRsForWavesPerEU: 8
; AccumOffset: 8
; Occupancy: 8
; WaveLimiterHint : 0
; COMPUTE_PGM_RSRC2:SCRATCH_EN: 0
; COMPUTE_PGM_RSRC2:USER_SGPR: 6
; COMPUTE_PGM_RSRC2:TRAP_HANDLER: 0
; COMPUTE_PGM_RSRC2:TGID_X_EN: 1
; COMPUTE_PGM_RSRC2:TGID_Y_EN: 0
; COMPUTE_PGM_RSRC2:TGID_Z_EN: 0
; COMPUTE_PGM_RSRC2:TIDIG_COMP_CNT: 0
; COMPUTE_PGM_RSRC3_GFX90A:ACCUM_OFFSET: 1
; COMPUTE_PGM_RSRC3_GFX90A:TG_SPLIT: 0
	.section	.text._Z6kernelI23warp_striped_to_blockedaLj256ELj3ELj100EEvPKT0_PKjPS1_,"axG",@progbits,_Z6kernelI23warp_striped_to_blockedaLj256ELj3ELj100EEvPKT0_PKjPS1_,comdat
	.protected	_Z6kernelI23warp_striped_to_blockedaLj256ELj3ELj100EEvPKT0_PKjPS1_ ; -- Begin function _Z6kernelI23warp_striped_to_blockedaLj256ELj3ELj100EEvPKT0_PKjPS1_
	.globl	_Z6kernelI23warp_striped_to_blockedaLj256ELj3ELj100EEvPKT0_PKjPS1_
	.p2align	8
	.type	_Z6kernelI23warp_striped_to_blockedaLj256ELj3ELj100EEvPKT0_PKjPS1_,@function
_Z6kernelI23warp_striped_to_blockedaLj256ELj3ELj100EEvPKT0_PKjPS1_: ; @_Z6kernelI23warp_striped_to_blockedaLj256ELj3ELj100EEvPKT0_PKjPS1_
; %bb.0:
	s_load_dwordx2 s[2:3], s[4:5], 0x0
	s_mul_i32 s0, s6, 0x300
	v_mbcnt_lo_u32_b32 v1, -1, 0
	v_mbcnt_hi_u32_b32 v4, -1, v1
	v_and_b32_e32 v1, 0xc0, v0
	s_waitcnt lgkmcnt(0)
	s_add_u32 s1, s2, s0
	s_addc_u32 s2, s3, 0
	v_mov_b32_e32 v2, s2
	v_add_co_u32_e32 v3, vcc, s1, v4
	v_mul_u32_u24_e32 v1, 3, v1
	v_addc_co_u32_e32 v5, vcc, 0, v2, vcc
	v_add_co_u32_e32 v2, vcc, v3, v1
	v_addc_co_u32_e32 v3, vcc, 0, v5, vcc
	global_load_ubyte v5, v[2:3], off offset:64
	global_load_ubyte v6, v[2:3], off
	global_load_ubyte v7, v[2:3], off offset:128
	v_lshrrev_b32_e32 v1, 6, v0
	v_mul_u32_u24_e32 v2, 0xc0, v1
	s_movk_i32 s1, 0x64
	v_mad_u32_u24 v1, v4, 3, v2
	v_add_u32_e32 v2, v4, v2
	s_waitcnt vmcnt(2)
	v_lshlrev_b16_e32 v3, 8, v5
	s_waitcnt vmcnt(1)
	v_or_b32_e32 v3, v6, v3
	v_and_b32_e32 v3, 0xffff, v3
	s_waitcnt vmcnt(0)
	v_lshl_or_b32 v5, v7, 16, v3
.LBB98_1:                               ; =>This Inner Loop Header: Depth=1
	v_lshrrev_b32_e32 v3, 8, v5
	ds_write_b8 v2, v5
	ds_write_b8 v2, v3 offset:64
	ds_write_b8_d16_hi v2, v5 offset:128
	; wave barrier
	ds_read_u8 v4, v1 offset:1
	ds_read_u8 v5, v1
	ds_read_u8 v3, v1 offset:2
	s_add_i32 s1, s1, -1
	s_cmp_lg_u32 s1, 0
	s_waitcnt lgkmcnt(2)
	v_lshlrev_b16_e32 v4, 8, v4
	s_waitcnt lgkmcnt(1)
	v_or_b32_e32 v4, v5, v4
	s_waitcnt lgkmcnt(0)
	v_lshlrev_b32_e32 v5, 16, v3
	v_or_b32_sdwa v5, v4, v5 dst_sel:DWORD dst_unused:UNUSED_PAD src0_sel:WORD_0 src1_sel:DWORD
	s_barrier
	s_cbranch_scc1 .LBB98_1
; %bb.2:
	s_load_dwordx2 s[2:3], s[4:5], 0x10
	v_mul_u32_u24_e32 v0, 3, v0
	s_waitcnt lgkmcnt(0)
	s_add_u32 s0, s2, s0
	s_addc_u32 s1, s3, 0
	global_store_byte v0, v3, s[0:1] offset:2
	global_store_short v0, v4, s[0:1]
	s_endpgm
	.section	.rodata,"a",@progbits
	.p2align	6, 0x0
	.amdhsa_kernel _Z6kernelI23warp_striped_to_blockedaLj256ELj3ELj100EEvPKT0_PKjPS1_
		.amdhsa_group_segment_fixed_size 768
		.amdhsa_private_segment_fixed_size 0
		.amdhsa_kernarg_size 24
		.amdhsa_user_sgpr_count 6
		.amdhsa_user_sgpr_private_segment_buffer 1
		.amdhsa_user_sgpr_dispatch_ptr 0
		.amdhsa_user_sgpr_queue_ptr 0
		.amdhsa_user_sgpr_kernarg_segment_ptr 1
		.amdhsa_user_sgpr_dispatch_id 0
		.amdhsa_user_sgpr_flat_scratch_init 0
		.amdhsa_user_sgpr_kernarg_preload_length 0
		.amdhsa_user_sgpr_kernarg_preload_offset 0
		.amdhsa_user_sgpr_private_segment_size 0
		.amdhsa_uses_dynamic_stack 0
		.amdhsa_system_sgpr_private_segment_wavefront_offset 0
		.amdhsa_system_sgpr_workgroup_id_x 1
		.amdhsa_system_sgpr_workgroup_id_y 0
		.amdhsa_system_sgpr_workgroup_id_z 0
		.amdhsa_system_sgpr_workgroup_info 0
		.amdhsa_system_vgpr_workitem_id 0
		.amdhsa_next_free_vgpr 8
		.amdhsa_next_free_sgpr 7
		.amdhsa_accum_offset 8
		.amdhsa_reserve_vcc 1
		.amdhsa_reserve_flat_scratch 0
		.amdhsa_float_round_mode_32 0
		.amdhsa_float_round_mode_16_64 0
		.amdhsa_float_denorm_mode_32 3
		.amdhsa_float_denorm_mode_16_64 3
		.amdhsa_dx10_clamp 1
		.amdhsa_ieee_mode 1
		.amdhsa_fp16_overflow 0
		.amdhsa_tg_split 0
		.amdhsa_exception_fp_ieee_invalid_op 0
		.amdhsa_exception_fp_denorm_src 0
		.amdhsa_exception_fp_ieee_div_zero 0
		.amdhsa_exception_fp_ieee_overflow 0
		.amdhsa_exception_fp_ieee_underflow 0
		.amdhsa_exception_fp_ieee_inexact 0
		.amdhsa_exception_int_div_zero 0
	.end_amdhsa_kernel
	.section	.text._Z6kernelI23warp_striped_to_blockedaLj256ELj3ELj100EEvPKT0_PKjPS1_,"axG",@progbits,_Z6kernelI23warp_striped_to_blockedaLj256ELj3ELj100EEvPKT0_PKjPS1_,comdat
.Lfunc_end98:
	.size	_Z6kernelI23warp_striped_to_blockedaLj256ELj3ELj100EEvPKT0_PKjPS1_, .Lfunc_end98-_Z6kernelI23warp_striped_to_blockedaLj256ELj3ELj100EEvPKT0_PKjPS1_
                                        ; -- End function
	.section	.AMDGPU.csdata,"",@progbits
; Kernel info:
; codeLenInByte = 308
; NumSgprs: 11
; NumVgprs: 8
; NumAgprs: 0
; TotalNumVgprs: 8
; ScratchSize: 0
; MemoryBound: 0
; FloatMode: 240
; IeeeMode: 1
; LDSByteSize: 768 bytes/workgroup (compile time only)
; SGPRBlocks: 1
; VGPRBlocks: 0
; NumSGPRsForWavesPerEU: 11
; NumVGPRsForWavesPerEU: 8
; AccumOffset: 8
; Occupancy: 8
; WaveLimiterHint : 0
; COMPUTE_PGM_RSRC2:SCRATCH_EN: 0
; COMPUTE_PGM_RSRC2:USER_SGPR: 6
; COMPUTE_PGM_RSRC2:TRAP_HANDLER: 0
; COMPUTE_PGM_RSRC2:TGID_X_EN: 1
; COMPUTE_PGM_RSRC2:TGID_Y_EN: 0
; COMPUTE_PGM_RSRC2:TGID_Z_EN: 0
; COMPUTE_PGM_RSRC2:TIDIG_COMP_CNT: 0
; COMPUTE_PGM_RSRC3_GFX90A:ACCUM_OFFSET: 1
; COMPUTE_PGM_RSRC3_GFX90A:TG_SPLIT: 0
	.section	.text._Z6kernelI23warp_striped_to_blockedaLj256ELj4ELj100EEvPKT0_PKjPS1_,"axG",@progbits,_Z6kernelI23warp_striped_to_blockedaLj256ELj4ELj100EEvPKT0_PKjPS1_,comdat
	.protected	_Z6kernelI23warp_striped_to_blockedaLj256ELj4ELj100EEvPKT0_PKjPS1_ ; -- Begin function _Z6kernelI23warp_striped_to_blockedaLj256ELj4ELj100EEvPKT0_PKjPS1_
	.globl	_Z6kernelI23warp_striped_to_blockedaLj256ELj4ELj100EEvPKT0_PKjPS1_
	.p2align	8
	.type	_Z6kernelI23warp_striped_to_blockedaLj256ELj4ELj100EEvPKT0_PKjPS1_,@function
_Z6kernelI23warp_striped_to_blockedaLj256ELj4ELj100EEvPKT0_PKjPS1_: ; @_Z6kernelI23warp_striped_to_blockedaLj256ELj4ELj100EEvPKT0_PKjPS1_
; %bb.0:
	s_load_dwordx2 s[2:3], s[4:5], 0x0
	s_lshl_b32 s0, s6, 10
	v_mbcnt_lo_u32_b32 v1, -1, 0
	v_mbcnt_hi_u32_b32 v4, -1, v1
	v_lshlrev_b32_e32 v1, 2, v0
	s_waitcnt lgkmcnt(0)
	s_add_u32 s1, s2, s0
	s_addc_u32 s2, s3, 0
	v_mov_b32_e32 v2, s2
	v_add_co_u32_e32 v3, vcc, s1, v4
	v_and_b32_e32 v5, 0x300, v1
	v_addc_co_u32_e32 v6, vcc, 0, v2, vcc
	v_add_co_u32_e32 v2, vcc, v3, v5
	v_addc_co_u32_e32 v3, vcc, 0, v6, vcc
	global_load_ubyte v6, v[2:3], off offset:64
	global_load_ubyte v7, v[2:3], off offset:192
	global_load_ubyte v8, v[2:3], off
	global_load_ubyte v9, v[2:3], off offset:128
	v_and_b32_e32 v0, 0xc0, v0
	v_add_u32_e32 v2, v4, v0
	v_or_b32_e32 v10, v4, v5
	v_lshrrev_b32_e32 v0, 5, v5
	v_or_b32_e32 v3, 0x80, v5
	v_lshrrev_b32_e32 v4, 3, v2
	v_add_u32_e32 v5, 64, v10
	v_add_u32_e32 v11, 0xc0, v10
	v_and_b32_e32 v4, 60, v4
	v_lshrrev_b32_e32 v5, 5, v5
	v_lshrrev_b32_e32 v11, 5, v11
	v_lshl_add_u32 v2, v2, 2, v4
	v_and_b32_e32 v4, 28, v5
	v_lshrrev_b32_e32 v3, 5, v3
	v_and_b32_e32 v11, 60, v11
	s_movk_i32 s1, 0x64
	v_add_u32_e32 v0, v0, v10
	v_add_u32_e32 v3, v3, v10
	v_add_u32_e32 v4, v4, v10
	s_waitcnt vmcnt(3)
	v_lshlrev_b16_e32 v5, 8, v6
	s_waitcnt vmcnt(2)
	v_lshlrev_b16_e32 v6, 8, v7
	s_waitcnt vmcnt(1)
	v_or_b32_e32 v5, v8, v5
	s_waitcnt vmcnt(0)
	v_or_b32_sdwa v6, v9, v6 dst_sel:WORD_1 dst_unused:UNUSED_PAD src0_sel:DWORD src1_sel:DWORD
	v_or_b32_sdwa v5, v5, v6 dst_sel:DWORD dst_unused:UNUSED_PAD src0_sel:WORD_0 src1_sel:DWORD
	v_add_u32_e32 v6, v11, v10
.LBB99_1:                               ; =>This Inner Loop Header: Depth=1
	v_lshrrev_b32_e32 v7, 8, v5
	ds_write_b8 v0, v5
	ds_write_b8 v4, v7 offset:64
	ds_write_b8_d16_hi v3, v5 offset:128
	v_lshrrev_b32_e32 v5, 24, v5
	ds_write_b8 v6, v5 offset:192
	; wave barrier
	ds_read_b32 v5, v2
	s_add_i32 s1, s1, -1
	s_cmp_lg_u32 s1, 0
	s_waitcnt lgkmcnt(0)
	s_barrier
	s_cbranch_scc1 .LBB99_1
; %bb.2:
	s_load_dwordx2 s[2:3], s[4:5], 0x10
	s_waitcnt lgkmcnt(0)
	s_add_u32 s0, s2, s0
	s_addc_u32 s1, s3, 0
	global_store_dword v1, v5, s[0:1]
	s_endpgm
	.section	.rodata,"a",@progbits
	.p2align	6, 0x0
	.amdhsa_kernel _Z6kernelI23warp_striped_to_blockedaLj256ELj4ELj100EEvPKT0_PKjPS1_
		.amdhsa_group_segment_fixed_size 1056
		.amdhsa_private_segment_fixed_size 0
		.amdhsa_kernarg_size 24
		.amdhsa_user_sgpr_count 6
		.amdhsa_user_sgpr_private_segment_buffer 1
		.amdhsa_user_sgpr_dispatch_ptr 0
		.amdhsa_user_sgpr_queue_ptr 0
		.amdhsa_user_sgpr_kernarg_segment_ptr 1
		.amdhsa_user_sgpr_dispatch_id 0
		.amdhsa_user_sgpr_flat_scratch_init 0
		.amdhsa_user_sgpr_kernarg_preload_length 0
		.amdhsa_user_sgpr_kernarg_preload_offset 0
		.amdhsa_user_sgpr_private_segment_size 0
		.amdhsa_uses_dynamic_stack 0
		.amdhsa_system_sgpr_private_segment_wavefront_offset 0
		.amdhsa_system_sgpr_workgroup_id_x 1
		.amdhsa_system_sgpr_workgroup_id_y 0
		.amdhsa_system_sgpr_workgroup_id_z 0
		.amdhsa_system_sgpr_workgroup_info 0
		.amdhsa_system_vgpr_workitem_id 0
		.amdhsa_next_free_vgpr 12
		.amdhsa_next_free_sgpr 7
		.amdhsa_accum_offset 12
		.amdhsa_reserve_vcc 1
		.amdhsa_reserve_flat_scratch 0
		.amdhsa_float_round_mode_32 0
		.amdhsa_float_round_mode_16_64 0
		.amdhsa_float_denorm_mode_32 3
		.amdhsa_float_denorm_mode_16_64 3
		.amdhsa_dx10_clamp 1
		.amdhsa_ieee_mode 1
		.amdhsa_fp16_overflow 0
		.amdhsa_tg_split 0
		.amdhsa_exception_fp_ieee_invalid_op 0
		.amdhsa_exception_fp_denorm_src 0
		.amdhsa_exception_fp_ieee_div_zero 0
		.amdhsa_exception_fp_ieee_overflow 0
		.amdhsa_exception_fp_ieee_underflow 0
		.amdhsa_exception_fp_ieee_inexact 0
		.amdhsa_exception_int_div_zero 0
	.end_amdhsa_kernel
	.section	.text._Z6kernelI23warp_striped_to_blockedaLj256ELj4ELj100EEvPKT0_PKjPS1_,"axG",@progbits,_Z6kernelI23warp_striped_to_blockedaLj256ELj4ELj100EEvPKT0_PKjPS1_,comdat
.Lfunc_end99:
	.size	_Z6kernelI23warp_striped_to_blockedaLj256ELj4ELj100EEvPKT0_PKjPS1_, .Lfunc_end99-_Z6kernelI23warp_striped_to_blockedaLj256ELj4ELj100EEvPKT0_PKjPS1_
                                        ; -- End function
	.section	.AMDGPU.csdata,"",@progbits
; Kernel info:
; codeLenInByte = 344
; NumSgprs: 11
; NumVgprs: 12
; NumAgprs: 0
; TotalNumVgprs: 12
; ScratchSize: 0
; MemoryBound: 0
; FloatMode: 240
; IeeeMode: 1
; LDSByteSize: 1056 bytes/workgroup (compile time only)
; SGPRBlocks: 1
; VGPRBlocks: 1
; NumSGPRsForWavesPerEU: 11
; NumVGPRsForWavesPerEU: 12
; AccumOffset: 12
; Occupancy: 8
; WaveLimiterHint : 0
; COMPUTE_PGM_RSRC2:SCRATCH_EN: 0
; COMPUTE_PGM_RSRC2:USER_SGPR: 6
; COMPUTE_PGM_RSRC2:TRAP_HANDLER: 0
; COMPUTE_PGM_RSRC2:TGID_X_EN: 1
; COMPUTE_PGM_RSRC2:TGID_Y_EN: 0
; COMPUTE_PGM_RSRC2:TGID_Z_EN: 0
; COMPUTE_PGM_RSRC2:TIDIG_COMP_CNT: 0
; COMPUTE_PGM_RSRC3_GFX90A:ACCUM_OFFSET: 2
; COMPUTE_PGM_RSRC3_GFX90A:TG_SPLIT: 0
	.section	.text._Z6kernelI23warp_striped_to_blockedaLj256ELj7ELj100EEvPKT0_PKjPS1_,"axG",@progbits,_Z6kernelI23warp_striped_to_blockedaLj256ELj7ELj100EEvPKT0_PKjPS1_,comdat
	.protected	_Z6kernelI23warp_striped_to_blockedaLj256ELj7ELj100EEvPKT0_PKjPS1_ ; -- Begin function _Z6kernelI23warp_striped_to_blockedaLj256ELj7ELj100EEvPKT0_PKjPS1_
	.globl	_Z6kernelI23warp_striped_to_blockedaLj256ELj7ELj100EEvPKT0_PKjPS1_
	.p2align	8
	.type	_Z6kernelI23warp_striped_to_blockedaLj256ELj7ELj100EEvPKT0_PKjPS1_,@function
_Z6kernelI23warp_striped_to_blockedaLj256ELj7ELj100EEvPKT0_PKjPS1_: ; @_Z6kernelI23warp_striped_to_blockedaLj256ELj7ELj100EEvPKT0_PKjPS1_
; %bb.0:
	s_load_dwordx2 s[2:3], s[4:5], 0x0
	s_mul_i32 s0, s6, 0x700
	v_mbcnt_lo_u32_b32 v1, -1, 0
	v_mbcnt_hi_u32_b32 v6, -1, v1
	v_and_b32_e32 v1, 0xc0, v0
	s_waitcnt lgkmcnt(0)
	s_add_u32 s1, s2, s0
	s_addc_u32 s2, s3, 0
	v_mov_b32_e32 v2, s2
	v_add_co_u32_e32 v3, vcc, s1, v6
	v_mul_u32_u24_e32 v1, 7, v1
	v_addc_co_u32_e32 v2, vcc, 0, v2, vcc
	v_add_co_u32_e32 v4, vcc, v3, v1
	v_addc_co_u32_e32 v5, vcc, 0, v2, vcc
	global_load_ubyte v7, v[4:5], off offset:64
	global_load_ubyte v8, v[4:5], off offset:192
	global_load_ubyte v9, v[4:5], off
	global_load_ubyte v10, v[4:5], off offset:128
	global_load_ubyte v2, v[4:5], off offset:256
	;; [unrolled: 1-line block ×4, first 2 shown]
	v_lshrrev_b32_e32 v4, 6, v0
	v_mul_u32_u24_e32 v11, 0x1c0, v4
	s_movk_i32 s1, 0x64
	v_mad_u32_u24 v4, v6, 7, v11
	v_add_u32_e32 v6, v6, v11
	s_waitcnt vmcnt(6)
	v_lshlrev_b16_e32 v5, 8, v7
	s_waitcnt vmcnt(5)
	v_lshlrev_b16_e32 v7, 8, v8
	s_waitcnt vmcnt(4)
	v_or_b32_e32 v5, v9, v5
	s_waitcnt vmcnt(3)
	v_or_b32_sdwa v7, v10, v7 dst_sel:WORD_1 dst_unused:UNUSED_PAD src0_sel:DWORD src1_sel:DWORD
	v_or_b32_sdwa v5, v5, v7 dst_sel:DWORD dst_unused:UNUSED_PAD src0_sel:WORD_0 src1_sel:DWORD
.LBB100_1:                              ; =>This Inner Loop Header: Depth=1
	v_lshrrev_b32_e32 v7, 8, v5
	ds_write_b8 v6, v5
	ds_write_b8 v6, v7 offset:64
	ds_write_b8_d16_hi v6, v5 offset:128
	v_lshrrev_b32_e32 v5, 24, v5
	ds_write_b8 v6, v5 offset:192
	s_waitcnt vmcnt(2)
	ds_write_b8 v6, v2 offset:256
	s_waitcnt vmcnt(1)
	;; [unrolled: 2-line block ×3, first 2 shown]
	ds_write_b8 v6, v1 offset:384
	; wave barrier
	ds_read_b32 v5, v4
	ds_read_u8 v2, v4 offset:4
	ds_read_u8 v3, v4 offset:5
	;; [unrolled: 1-line block ×3, first 2 shown]
	s_add_i32 s1, s1, -1
	s_cmp_lg_u32 s1, 0
	s_waitcnt lgkmcnt(0)
	s_barrier
	s_cbranch_scc1 .LBB100_1
; %bb.2:
	s_load_dwordx2 s[2:3], s[4:5], 0x10
	v_mul_u32_u24_e32 v0, 7, v0
	v_lshlrev_b16_e32 v3, 8, v3
	v_or_b32_sdwa v2, v2, v3 dst_sel:DWORD dst_unused:UNUSED_PAD src0_sel:BYTE_0 src1_sel:DWORD
	s_waitcnt lgkmcnt(0)
	s_add_u32 s0, s2, s0
	s_addc_u32 s1, s3, 0
	global_store_byte v0, v1, s[0:1] offset:6
	global_store_short v0, v2, s[0:1] offset:4
	global_store_dword v0, v5, s[0:1]
	s_endpgm
	.section	.rodata,"a",@progbits
	.p2align	6, 0x0
	.amdhsa_kernel _Z6kernelI23warp_striped_to_blockedaLj256ELj7ELj100EEvPKT0_PKjPS1_
		.amdhsa_group_segment_fixed_size 1792
		.amdhsa_private_segment_fixed_size 0
		.amdhsa_kernarg_size 24
		.amdhsa_user_sgpr_count 6
		.amdhsa_user_sgpr_private_segment_buffer 1
		.amdhsa_user_sgpr_dispatch_ptr 0
		.amdhsa_user_sgpr_queue_ptr 0
		.amdhsa_user_sgpr_kernarg_segment_ptr 1
		.amdhsa_user_sgpr_dispatch_id 0
		.amdhsa_user_sgpr_flat_scratch_init 0
		.amdhsa_user_sgpr_kernarg_preload_length 0
		.amdhsa_user_sgpr_kernarg_preload_offset 0
		.amdhsa_user_sgpr_private_segment_size 0
		.amdhsa_uses_dynamic_stack 0
		.amdhsa_system_sgpr_private_segment_wavefront_offset 0
		.amdhsa_system_sgpr_workgroup_id_x 1
		.amdhsa_system_sgpr_workgroup_id_y 0
		.amdhsa_system_sgpr_workgroup_id_z 0
		.amdhsa_system_sgpr_workgroup_info 0
		.amdhsa_system_vgpr_workitem_id 0
		.amdhsa_next_free_vgpr 12
		.amdhsa_next_free_sgpr 7
		.amdhsa_accum_offset 12
		.amdhsa_reserve_vcc 1
		.amdhsa_reserve_flat_scratch 0
		.amdhsa_float_round_mode_32 0
		.amdhsa_float_round_mode_16_64 0
		.amdhsa_float_denorm_mode_32 3
		.amdhsa_float_denorm_mode_16_64 3
		.amdhsa_dx10_clamp 1
		.amdhsa_ieee_mode 1
		.amdhsa_fp16_overflow 0
		.amdhsa_tg_split 0
		.amdhsa_exception_fp_ieee_invalid_op 0
		.amdhsa_exception_fp_denorm_src 0
		.amdhsa_exception_fp_ieee_div_zero 0
		.amdhsa_exception_fp_ieee_overflow 0
		.amdhsa_exception_fp_ieee_underflow 0
		.amdhsa_exception_fp_ieee_inexact 0
		.amdhsa_exception_int_div_zero 0
	.end_amdhsa_kernel
	.section	.text._Z6kernelI23warp_striped_to_blockedaLj256ELj7ELj100EEvPKT0_PKjPS1_,"axG",@progbits,_Z6kernelI23warp_striped_to_blockedaLj256ELj7ELj100EEvPKT0_PKjPS1_,comdat
.Lfunc_end100:
	.size	_Z6kernelI23warp_striped_to_blockedaLj256ELj7ELj100EEvPKT0_PKjPS1_, .Lfunc_end100-_Z6kernelI23warp_striped_to_blockedaLj256ELj7ELj100EEvPKT0_PKjPS1_
                                        ; -- End function
	.section	.AMDGPU.csdata,"",@progbits
; Kernel info:
; codeLenInByte = 396
; NumSgprs: 11
; NumVgprs: 12
; NumAgprs: 0
; TotalNumVgprs: 12
; ScratchSize: 0
; MemoryBound: 0
; FloatMode: 240
; IeeeMode: 1
; LDSByteSize: 1792 bytes/workgroup (compile time only)
; SGPRBlocks: 1
; VGPRBlocks: 1
; NumSGPRsForWavesPerEU: 11
; NumVGPRsForWavesPerEU: 12
; AccumOffset: 12
; Occupancy: 8
; WaveLimiterHint : 0
; COMPUTE_PGM_RSRC2:SCRATCH_EN: 0
; COMPUTE_PGM_RSRC2:USER_SGPR: 6
; COMPUTE_PGM_RSRC2:TRAP_HANDLER: 0
; COMPUTE_PGM_RSRC2:TGID_X_EN: 1
; COMPUTE_PGM_RSRC2:TGID_Y_EN: 0
; COMPUTE_PGM_RSRC2:TGID_Z_EN: 0
; COMPUTE_PGM_RSRC2:TIDIG_COMP_CNT: 0
; COMPUTE_PGM_RSRC3_GFX90A:ACCUM_OFFSET: 2
; COMPUTE_PGM_RSRC3_GFX90A:TG_SPLIT: 0
	.section	.text._Z6kernelI23warp_striped_to_blockedaLj256ELj8ELj100EEvPKT0_PKjPS1_,"axG",@progbits,_Z6kernelI23warp_striped_to_blockedaLj256ELj8ELj100EEvPKT0_PKjPS1_,comdat
	.protected	_Z6kernelI23warp_striped_to_blockedaLj256ELj8ELj100EEvPKT0_PKjPS1_ ; -- Begin function _Z6kernelI23warp_striped_to_blockedaLj256ELj8ELj100EEvPKT0_PKjPS1_
	.globl	_Z6kernelI23warp_striped_to_blockedaLj256ELj8ELj100EEvPKT0_PKjPS1_
	.p2align	8
	.type	_Z6kernelI23warp_striped_to_blockedaLj256ELj8ELj100EEvPKT0_PKjPS1_,@function
_Z6kernelI23warp_striped_to_blockedaLj256ELj8ELj100EEvPKT0_PKjPS1_: ; @_Z6kernelI23warp_striped_to_blockedaLj256ELj8ELj100EEvPKT0_PKjPS1_
; %bb.0:
	s_load_dwordx2 s[2:3], s[4:5], 0x0
	s_lshl_b32 s0, s6, 11
	v_mbcnt_lo_u32_b32 v1, -1, 0
	v_mbcnt_hi_u32_b32 v1, -1, v1
	v_lshlrev_b32_e32 v2, 3, v0
	s_waitcnt lgkmcnt(0)
	s_add_u32 s1, s2, s0
	s_addc_u32 s2, s3, 0
	v_mov_b32_e32 v4, s2
	v_add_co_u32_e32 v5, vcc, s1, v1
	v_and_b32_e32 v3, 0x600, v2
	v_addc_co_u32_e32 v6, vcc, 0, v4, vcc
	v_add_co_u32_e32 v4, vcc, v5, v3
	v_addc_co_u32_e32 v5, vcc, 0, v6, vcc
	global_load_ubyte v11, v[4:5], off offset:64
	global_load_ubyte v12, v[4:5], off offset:192
	;; [unrolled: 1-line block ×4, first 2 shown]
	global_load_ubyte v15, v[4:5], off
	global_load_ubyte v16, v[4:5], off offset:128
	global_load_ubyte v17, v[4:5], off offset:256
	;; [unrolled: 1-line block ×3, first 2 shown]
	v_and_b32_e32 v0, 0xc0, v0
	v_add_u32_e32 v0, v1, v0
	v_or_b32_e32 v19, v1, v3
	v_or_b32_e32 v4, 0x80, v3
	v_lshrrev_b32_e32 v1, 5, v3
	v_or_b32_e32 v5, 0x100, v3
	v_or_b32_e32 v3, 0x180, v3
	v_lshrrev_b32_e32 v6, 2, v0
	v_add_u32_e32 v7, 64, v19
	v_lshrrev_b32_e32 v8, 5, v4
	v_add_u32_e32 v4, 0xc0, v19
	v_lshrrev_b32_e32 v10, 5, v3
	v_and_b32_e32 v6, 0x7c, v6
	v_add_u32_e32 v3, v1, v19
	v_lshrrev_b32_e32 v1, 5, v7
	v_lshrrev_b32_e32 v21, 5, v4
	;; [unrolled: 1-line block ×3, first 2 shown]
	v_add_u32_e32 v5, 0x140, v19
	v_add_u32_e32 v20, 0x1c0, v19
	v_lshl_add_u32 v4, v0, 3, v6
	v_and_b32_e32 v0, 52, v1
	v_and_b32_e32 v1, 60, v21
	v_lshrrev_b32_e32 v22, 5, v5
	v_lshrrev_b32_e32 v20, 5, v20
	v_add_u32_e32 v5, v8, v19
	v_add_u32_e32 v6, v9, v19
	;; [unrolled: 1-line block ×5, first 2 shown]
	v_and_b32_e32 v10, 60, v22
	v_and_b32_e32 v20, 0x7c, v20
	s_movk_i32 s1, 0x64
	v_add_u32_e32 v10, v10, v19
	s_waitcnt vmcnt(7)
	v_lshlrev_b16_e32 v0, 8, v11
	s_waitcnt vmcnt(6)
	v_lshlrev_b16_e32 v1, 8, v12
	;; [unrolled: 2-line block ×4, first 2 shown]
	s_waitcnt vmcnt(3)
	v_or_b32_e32 v0, v15, v0
	s_waitcnt vmcnt(2)
	v_or_b32_sdwa v1, v16, v1 dst_sel:WORD_1 dst_unused:UNUSED_PAD src0_sel:DWORD src1_sel:DWORD
	s_waitcnt vmcnt(1)
	v_or_b32_e32 v11, v17, v11
	s_waitcnt vmcnt(0)
	v_or_b32_sdwa v12, v18, v12 dst_sel:WORD_1 dst_unused:UNUSED_PAD src0_sel:DWORD src1_sel:DWORD
	v_or_b32_sdwa v0, v0, v1 dst_sel:DWORD dst_unused:UNUSED_PAD src0_sel:WORD_0 src1_sel:DWORD
	v_or_b32_sdwa v1, v11, v12 dst_sel:DWORD dst_unused:UNUSED_PAD src0_sel:WORD_0 src1_sel:DWORD
	v_add_u32_e32 v11, v20, v19
.LBB101_1:                              ; =>This Inner Loop Header: Depth=1
	v_lshrrev_b32_e32 v12, 8, v0
	ds_write_b8 v3, v0
	ds_write_b8 v8, v12 offset:64
	ds_write_b8_d16_hi v5, v0 offset:128
	v_lshrrev_b32_e32 v0, 24, v0
	ds_write_b8 v9, v0 offset:192
	ds_write_b8 v6, v1 offset:256
	v_lshrrev_b32_e32 v0, 8, v1
	ds_write_b8 v10, v0 offset:320
	ds_write_b8_d16_hi v7, v1 offset:384
	v_lshrrev_b32_e32 v0, 24, v1
	ds_write_b8 v11, v0 offset:448
	; wave barrier
	ds_read2_b32 v[0:1], v4 offset1:1
	s_add_i32 s1, s1, -1
	s_cmp_lg_u32 s1, 0
	s_waitcnt lgkmcnt(0)
	s_barrier
	s_cbranch_scc1 .LBB101_1
; %bb.2:
	s_load_dwordx2 s[2:3], s[4:5], 0x10
	s_waitcnt lgkmcnt(0)
	s_add_u32 s0, s2, s0
	s_addc_u32 s1, s3, 0
	global_store_dwordx2 v2, v[0:1], s[0:1]
	s_endpgm
	.section	.rodata,"a",@progbits
	.p2align	6, 0x0
	.amdhsa_kernel _Z6kernelI23warp_striped_to_blockedaLj256ELj8ELj100EEvPKT0_PKjPS1_
		.amdhsa_group_segment_fixed_size 2112
		.amdhsa_private_segment_fixed_size 0
		.amdhsa_kernarg_size 24
		.amdhsa_user_sgpr_count 6
		.amdhsa_user_sgpr_private_segment_buffer 1
		.amdhsa_user_sgpr_dispatch_ptr 0
		.amdhsa_user_sgpr_queue_ptr 0
		.amdhsa_user_sgpr_kernarg_segment_ptr 1
		.amdhsa_user_sgpr_dispatch_id 0
		.amdhsa_user_sgpr_flat_scratch_init 0
		.amdhsa_user_sgpr_kernarg_preload_length 0
		.amdhsa_user_sgpr_kernarg_preload_offset 0
		.amdhsa_user_sgpr_private_segment_size 0
		.amdhsa_uses_dynamic_stack 0
		.amdhsa_system_sgpr_private_segment_wavefront_offset 0
		.amdhsa_system_sgpr_workgroup_id_x 1
		.amdhsa_system_sgpr_workgroup_id_y 0
		.amdhsa_system_sgpr_workgroup_id_z 0
		.amdhsa_system_sgpr_workgroup_info 0
		.amdhsa_system_vgpr_workitem_id 0
		.amdhsa_next_free_vgpr 23
		.amdhsa_next_free_sgpr 7
		.amdhsa_accum_offset 24
		.amdhsa_reserve_vcc 1
		.amdhsa_reserve_flat_scratch 0
		.amdhsa_float_round_mode_32 0
		.amdhsa_float_round_mode_16_64 0
		.amdhsa_float_denorm_mode_32 3
		.amdhsa_float_denorm_mode_16_64 3
		.amdhsa_dx10_clamp 1
		.amdhsa_ieee_mode 1
		.amdhsa_fp16_overflow 0
		.amdhsa_tg_split 0
		.amdhsa_exception_fp_ieee_invalid_op 0
		.amdhsa_exception_fp_denorm_src 0
		.amdhsa_exception_fp_ieee_div_zero 0
		.amdhsa_exception_fp_ieee_overflow 0
		.amdhsa_exception_fp_ieee_underflow 0
		.amdhsa_exception_fp_ieee_inexact 0
		.amdhsa_exception_int_div_zero 0
	.end_amdhsa_kernel
	.section	.text._Z6kernelI23warp_striped_to_blockedaLj256ELj8ELj100EEvPKT0_PKjPS1_,"axG",@progbits,_Z6kernelI23warp_striped_to_blockedaLj256ELj8ELj100EEvPKT0_PKjPS1_,comdat
.Lfunc_end101:
	.size	_Z6kernelI23warp_striped_to_blockedaLj256ELj8ELj100EEvPKT0_PKjPS1_, .Lfunc_end101-_Z6kernelI23warp_striped_to_blockedaLj256ELj8ELj100EEvPKT0_PKjPS1_
                                        ; -- End function
	.section	.AMDGPU.csdata,"",@progbits
; Kernel info:
; codeLenInByte = 540
; NumSgprs: 11
; NumVgprs: 23
; NumAgprs: 0
; TotalNumVgprs: 23
; ScratchSize: 0
; MemoryBound: 0
; FloatMode: 240
; IeeeMode: 1
; LDSByteSize: 2112 bytes/workgroup (compile time only)
; SGPRBlocks: 1
; VGPRBlocks: 2
; NumSGPRsForWavesPerEU: 11
; NumVGPRsForWavesPerEU: 23
; AccumOffset: 24
; Occupancy: 8
; WaveLimiterHint : 0
; COMPUTE_PGM_RSRC2:SCRATCH_EN: 0
; COMPUTE_PGM_RSRC2:USER_SGPR: 6
; COMPUTE_PGM_RSRC2:TRAP_HANDLER: 0
; COMPUTE_PGM_RSRC2:TGID_X_EN: 1
; COMPUTE_PGM_RSRC2:TGID_Y_EN: 0
; COMPUTE_PGM_RSRC2:TGID_Z_EN: 0
; COMPUTE_PGM_RSRC2:TIDIG_COMP_CNT: 0
; COMPUTE_PGM_RSRC3_GFX90A:ACCUM_OFFSET: 5
; COMPUTE_PGM_RSRC3_GFX90A:TG_SPLIT: 0
	.section	.text._Z6kernelI23warp_striped_to_blockedxLj256ELj1ELj100EEvPKT0_PKjPS1_,"axG",@progbits,_Z6kernelI23warp_striped_to_blockedxLj256ELj1ELj100EEvPKT0_PKjPS1_,comdat
	.protected	_Z6kernelI23warp_striped_to_blockedxLj256ELj1ELj100EEvPKT0_PKjPS1_ ; -- Begin function _Z6kernelI23warp_striped_to_blockedxLj256ELj1ELj100EEvPKT0_PKjPS1_
	.globl	_Z6kernelI23warp_striped_to_blockedxLj256ELj1ELj100EEvPKT0_PKjPS1_
	.p2align	8
	.type	_Z6kernelI23warp_striped_to_blockedxLj256ELj1ELj100EEvPKT0_PKjPS1_,@function
_Z6kernelI23warp_striped_to_blockedxLj256ELj1ELj100EEvPKT0_PKjPS1_: ; @_Z6kernelI23warp_striped_to_blockedxLj256ELj1ELj100EEvPKT0_PKjPS1_
; %bb.0:
	s_load_dwordx2 s[2:3], s[4:5], 0x0
	s_lshl_b32 s0, s6, 8
	s_mov_b32 s1, 0
	s_lshl_b64 s[0:1], s[0:1], 3
	v_mbcnt_lo_u32_b32 v1, -1, 0
	s_waitcnt lgkmcnt(0)
	s_add_u32 s2, s2, s0
	v_mbcnt_hi_u32_b32 v1, -1, v1
	s_addc_u32 s3, s3, s1
	v_lshlrev_b32_e32 v1, 3, v1
	v_and_b32_e32 v2, 0xc0, v0
	v_mov_b32_e32 v3, s3
	v_add_co_u32_e32 v4, vcc, s2, v1
	v_addc_co_u32_e32 v3, vcc, 0, v3, vcc
	v_lshlrev_b32_e32 v5, 3, v2
	v_add_co_u32_e32 v2, vcc, v4, v5
	v_addc_co_u32_e32 v3, vcc, 0, v3, vcc
	global_load_dwordx2 v[2:3], v[2:3], off
	v_add_u32_e32 v1, v1, v5
	s_movk_i32 s2, 0x64
.LBB102_1:                              ; =>This Inner Loop Header: Depth=1
	s_waitcnt vmcnt(0)
	ds_write_b64 v1, v[2:3]
	; wave barrier
	ds_read_b64 v[2:3], v1
	s_add_i32 s2, s2, -1
	s_cmp_lg_u32 s2, 0
	s_waitcnt lgkmcnt(0)
	s_barrier
	s_cbranch_scc1 .LBB102_1
; %bb.2:
	s_load_dwordx2 s[2:3], s[4:5], 0x10
	v_lshlrev_b32_e32 v0, 3, v0
	s_waitcnt lgkmcnt(0)
	s_add_u32 s0, s2, s0
	s_addc_u32 s1, s3, s1
	global_store_dwordx2 v0, v[2:3], s[0:1]
	s_endpgm
	.section	.rodata,"a",@progbits
	.p2align	6, 0x0
	.amdhsa_kernel _Z6kernelI23warp_striped_to_blockedxLj256ELj1ELj100EEvPKT0_PKjPS1_
		.amdhsa_group_segment_fixed_size 2048
		.amdhsa_private_segment_fixed_size 0
		.amdhsa_kernarg_size 24
		.amdhsa_user_sgpr_count 6
		.amdhsa_user_sgpr_private_segment_buffer 1
		.amdhsa_user_sgpr_dispatch_ptr 0
		.amdhsa_user_sgpr_queue_ptr 0
		.amdhsa_user_sgpr_kernarg_segment_ptr 1
		.amdhsa_user_sgpr_dispatch_id 0
		.amdhsa_user_sgpr_flat_scratch_init 0
		.amdhsa_user_sgpr_kernarg_preload_length 0
		.amdhsa_user_sgpr_kernarg_preload_offset 0
		.amdhsa_user_sgpr_private_segment_size 0
		.amdhsa_uses_dynamic_stack 0
		.amdhsa_system_sgpr_private_segment_wavefront_offset 0
		.amdhsa_system_sgpr_workgroup_id_x 1
		.amdhsa_system_sgpr_workgroup_id_y 0
		.amdhsa_system_sgpr_workgroup_id_z 0
		.amdhsa_system_sgpr_workgroup_info 0
		.amdhsa_system_vgpr_workitem_id 0
		.amdhsa_next_free_vgpr 6
		.amdhsa_next_free_sgpr 7
		.amdhsa_accum_offset 8
		.amdhsa_reserve_vcc 1
		.amdhsa_reserve_flat_scratch 0
		.amdhsa_float_round_mode_32 0
		.amdhsa_float_round_mode_16_64 0
		.amdhsa_float_denorm_mode_32 3
		.amdhsa_float_denorm_mode_16_64 3
		.amdhsa_dx10_clamp 1
		.amdhsa_ieee_mode 1
		.amdhsa_fp16_overflow 0
		.amdhsa_tg_split 0
		.amdhsa_exception_fp_ieee_invalid_op 0
		.amdhsa_exception_fp_denorm_src 0
		.amdhsa_exception_fp_ieee_div_zero 0
		.amdhsa_exception_fp_ieee_overflow 0
		.amdhsa_exception_fp_ieee_underflow 0
		.amdhsa_exception_fp_ieee_inexact 0
		.amdhsa_exception_int_div_zero 0
	.end_amdhsa_kernel
	.section	.text._Z6kernelI23warp_striped_to_blockedxLj256ELj1ELj100EEvPKT0_PKjPS1_,"axG",@progbits,_Z6kernelI23warp_striped_to_blockedxLj256ELj1ELj100EEvPKT0_PKjPS1_,comdat
.Lfunc_end102:
	.size	_Z6kernelI23warp_striped_to_blockedxLj256ELj1ELj100EEvPKT0_PKjPS1_, .Lfunc_end102-_Z6kernelI23warp_striped_to_blockedxLj256ELj1ELj100EEvPKT0_PKjPS1_
                                        ; -- End function
	.section	.AMDGPU.csdata,"",@progbits
; Kernel info:
; codeLenInByte = 176
; NumSgprs: 11
; NumVgprs: 6
; NumAgprs: 0
; TotalNumVgprs: 6
; ScratchSize: 0
; MemoryBound: 0
; FloatMode: 240
; IeeeMode: 1
; LDSByteSize: 2048 bytes/workgroup (compile time only)
; SGPRBlocks: 1
; VGPRBlocks: 0
; NumSGPRsForWavesPerEU: 11
; NumVGPRsForWavesPerEU: 6
; AccumOffset: 8
; Occupancy: 8
; WaveLimiterHint : 0
; COMPUTE_PGM_RSRC2:SCRATCH_EN: 0
; COMPUTE_PGM_RSRC2:USER_SGPR: 6
; COMPUTE_PGM_RSRC2:TRAP_HANDLER: 0
; COMPUTE_PGM_RSRC2:TGID_X_EN: 1
; COMPUTE_PGM_RSRC2:TGID_Y_EN: 0
; COMPUTE_PGM_RSRC2:TGID_Z_EN: 0
; COMPUTE_PGM_RSRC2:TIDIG_COMP_CNT: 0
; COMPUTE_PGM_RSRC3_GFX90A:ACCUM_OFFSET: 1
; COMPUTE_PGM_RSRC3_GFX90A:TG_SPLIT: 0
	.section	.text._Z6kernelI23warp_striped_to_blockedxLj256ELj2ELj100EEvPKT0_PKjPS1_,"axG",@progbits,_Z6kernelI23warp_striped_to_blockedxLj256ELj2ELj100EEvPKT0_PKjPS1_,comdat
	.protected	_Z6kernelI23warp_striped_to_blockedxLj256ELj2ELj100EEvPKT0_PKjPS1_ ; -- Begin function _Z6kernelI23warp_striped_to_blockedxLj256ELj2ELj100EEvPKT0_PKjPS1_
	.globl	_Z6kernelI23warp_striped_to_blockedxLj256ELj2ELj100EEvPKT0_PKjPS1_
	.p2align	8
	.type	_Z6kernelI23warp_striped_to_blockedxLj256ELj2ELj100EEvPKT0_PKjPS1_,@function
_Z6kernelI23warp_striped_to_blockedxLj256ELj2ELj100EEvPKT0_PKjPS1_: ; @_Z6kernelI23warp_striped_to_blockedxLj256ELj2ELj100EEvPKT0_PKjPS1_
; %bb.0:
	s_load_dwordx2 s[2:3], s[4:5], 0x0
	s_lshl_b32 s0, s6, 9
	s_mov_b32 s1, 0
	s_lshl_b64 s[0:1], s[0:1], 3
	v_mbcnt_lo_u32_b32 v1, -1, 0
	s_waitcnt lgkmcnt(0)
	s_add_u32 s2, s2, s0
	v_mbcnt_hi_u32_b32 v8, -1, v1
	s_addc_u32 s3, s3, s1
	v_lshlrev_b32_e32 v1, 1, v0
	v_lshlrev_b32_e32 v2, 3, v8
	v_and_b32_e32 v9, 0x180, v1
	v_mov_b32_e32 v3, s3
	v_add_co_u32_e32 v2, vcc, s2, v2
	v_addc_co_u32_e32 v3, vcc, 0, v3, vcc
	v_lshlrev_b32_e32 v4, 3, v9
	v_add_co_u32_e32 v6, vcc, v2, v4
	v_addc_co_u32_e32 v7, vcc, 0, v3, vcc
	global_load_dwordx2 v[2:3], v[6:7], off
	global_load_dwordx2 v[4:5], v[6:7], off offset:512
	v_or_b32_e32 v7, v8, v9
	v_lshrrev_b32_e32 v6, 2, v7
	v_lshlrev_b32_e32 v9, 3, v7
	v_add_u32_e32 v7, 64, v7
	v_and_b32_e32 v0, 0xc0, v0
	v_lshrrev_b32_e32 v7, 2, v7
	v_add_u32_e32 v0, v8, v0
	v_and_b32_e32 v6, 0x78, v6
	v_and_b32_e32 v7, 0xf8, v7
	v_lshlrev_b32_e32 v8, 1, v0
	v_bfe_u32 v0, v0, 4, 27
	v_add_u32_e32 v6, v6, v9
	v_add_u32_e32 v7, v7, v9
	v_add_lshl_u32 v0, v0, v8, 3
	s_movk_i32 s2, 0x64
.LBB103_1:                              ; =>This Inner Loop Header: Depth=1
	s_waitcnt vmcnt(1)
	ds_write_b64 v6, v[2:3]
	s_waitcnt vmcnt(0)
	ds_write_b64 v7, v[4:5] offset:512
	; wave barrier
	ds_read2_b64 v[2:5], v0 offset1:1
	s_add_i32 s2, s2, -1
	s_cmp_lg_u32 s2, 0
	s_waitcnt lgkmcnt(0)
	s_barrier
	s_cbranch_scc1 .LBB103_1
; %bb.2:
	s_load_dwordx2 s[2:3], s[4:5], 0x10
	v_lshlrev_b32_e32 v0, 3, v1
	s_waitcnt lgkmcnt(0)
	s_add_u32 s0, s2, s0
	s_addc_u32 s1, s3, s1
	global_store_dwordx4 v0, v[2:5], s[0:1]
	s_endpgm
	.section	.rodata,"a",@progbits
	.p2align	6, 0x0
	.amdhsa_kernel _Z6kernelI23warp_striped_to_blockedxLj256ELj2ELj100EEvPKT0_PKjPS1_
		.amdhsa_group_segment_fixed_size 4224
		.amdhsa_private_segment_fixed_size 0
		.amdhsa_kernarg_size 24
		.amdhsa_user_sgpr_count 6
		.amdhsa_user_sgpr_private_segment_buffer 1
		.amdhsa_user_sgpr_dispatch_ptr 0
		.amdhsa_user_sgpr_queue_ptr 0
		.amdhsa_user_sgpr_kernarg_segment_ptr 1
		.amdhsa_user_sgpr_dispatch_id 0
		.amdhsa_user_sgpr_flat_scratch_init 0
		.amdhsa_user_sgpr_kernarg_preload_length 0
		.amdhsa_user_sgpr_kernarg_preload_offset 0
		.amdhsa_user_sgpr_private_segment_size 0
		.amdhsa_uses_dynamic_stack 0
		.amdhsa_system_sgpr_private_segment_wavefront_offset 0
		.amdhsa_system_sgpr_workgroup_id_x 1
		.amdhsa_system_sgpr_workgroup_id_y 0
		.amdhsa_system_sgpr_workgroup_id_z 0
		.amdhsa_system_sgpr_workgroup_info 0
		.amdhsa_system_vgpr_workitem_id 0
		.amdhsa_next_free_vgpr 10
		.amdhsa_next_free_sgpr 7
		.amdhsa_accum_offset 12
		.amdhsa_reserve_vcc 1
		.amdhsa_reserve_flat_scratch 0
		.amdhsa_float_round_mode_32 0
		.amdhsa_float_round_mode_16_64 0
		.amdhsa_float_denorm_mode_32 3
		.amdhsa_float_denorm_mode_16_64 3
		.amdhsa_dx10_clamp 1
		.amdhsa_ieee_mode 1
		.amdhsa_fp16_overflow 0
		.amdhsa_tg_split 0
		.amdhsa_exception_fp_ieee_invalid_op 0
		.amdhsa_exception_fp_denorm_src 0
		.amdhsa_exception_fp_ieee_div_zero 0
		.amdhsa_exception_fp_ieee_overflow 0
		.amdhsa_exception_fp_ieee_underflow 0
		.amdhsa_exception_fp_ieee_inexact 0
		.amdhsa_exception_int_div_zero 0
	.end_amdhsa_kernel
	.section	.text._Z6kernelI23warp_striped_to_blockedxLj256ELj2ELj100EEvPKT0_PKjPS1_,"axG",@progbits,_Z6kernelI23warp_striped_to_blockedxLj256ELj2ELj100EEvPKT0_PKjPS1_,comdat
.Lfunc_end103:
	.size	_Z6kernelI23warp_striped_to_blockedxLj256ELj2ELj100EEvPKT0_PKjPS1_, .Lfunc_end103-_Z6kernelI23warp_striped_to_blockedxLj256ELj2ELj100EEvPKT0_PKjPS1_
                                        ; -- End function
	.section	.AMDGPU.csdata,"",@progbits
; Kernel info:
; codeLenInByte = 272
; NumSgprs: 11
; NumVgprs: 10
; NumAgprs: 0
; TotalNumVgprs: 10
; ScratchSize: 0
; MemoryBound: 0
; FloatMode: 240
; IeeeMode: 1
; LDSByteSize: 4224 bytes/workgroup (compile time only)
; SGPRBlocks: 1
; VGPRBlocks: 1
; NumSGPRsForWavesPerEU: 11
; NumVGPRsForWavesPerEU: 10
; AccumOffset: 12
; Occupancy: 8
; WaveLimiterHint : 1
; COMPUTE_PGM_RSRC2:SCRATCH_EN: 0
; COMPUTE_PGM_RSRC2:USER_SGPR: 6
; COMPUTE_PGM_RSRC2:TRAP_HANDLER: 0
; COMPUTE_PGM_RSRC2:TGID_X_EN: 1
; COMPUTE_PGM_RSRC2:TGID_Y_EN: 0
; COMPUTE_PGM_RSRC2:TGID_Z_EN: 0
; COMPUTE_PGM_RSRC2:TIDIG_COMP_CNT: 0
; COMPUTE_PGM_RSRC3_GFX90A:ACCUM_OFFSET: 2
; COMPUTE_PGM_RSRC3_GFX90A:TG_SPLIT: 0
	.section	.text._Z6kernelI23warp_striped_to_blockedxLj256ELj3ELj100EEvPKT0_PKjPS1_,"axG",@progbits,_Z6kernelI23warp_striped_to_blockedxLj256ELj3ELj100EEvPKT0_PKjPS1_,comdat
	.protected	_Z6kernelI23warp_striped_to_blockedxLj256ELj3ELj100EEvPKT0_PKjPS1_ ; -- Begin function _Z6kernelI23warp_striped_to_blockedxLj256ELj3ELj100EEvPKT0_PKjPS1_
	.globl	_Z6kernelI23warp_striped_to_blockedxLj256ELj3ELj100EEvPKT0_PKjPS1_
	.p2align	8
	.type	_Z6kernelI23warp_striped_to_blockedxLj256ELj3ELj100EEvPKT0_PKjPS1_,@function
_Z6kernelI23warp_striped_to_blockedxLj256ELj3ELj100EEvPKT0_PKjPS1_: ; @_Z6kernelI23warp_striped_to_blockedxLj256ELj3ELj100EEvPKT0_PKjPS1_
; %bb.0:
	s_load_dwordx2 s[2:3], s[4:5], 0x0
	s_mul_i32 s0, s6, 0x300
	s_mov_b32 s1, 0
	s_lshl_b64 s[0:1], s[0:1], 3
	v_mbcnt_lo_u32_b32 v1, -1, 0
	s_waitcnt lgkmcnt(0)
	s_add_u32 s2, s2, s0
	v_mbcnt_hi_u32_b32 v10, -1, v1
	s_addc_u32 s3, s3, s1
	v_and_b32_e32 v1, 0xc0, v0
	v_lshlrev_b32_e32 v11, 3, v10
	v_mul_u32_u24_e32 v1, 3, v1
	v_mov_b32_e32 v2, s3
	v_add_co_u32_e32 v3, vcc, s2, v11
	v_addc_co_u32_e32 v2, vcc, 0, v2, vcc
	v_lshlrev_b32_e32 v1, 3, v1
	v_add_co_u32_e32 v8, vcc, v3, v1
	v_addc_co_u32_e32 v9, vcc, 0, v2, vcc
	global_load_dwordx2 v[2:3], v[8:9], off
	global_load_dwordx2 v[4:5], v[8:9], off offset:512
	global_load_dwordx2 v[6:7], v[8:9], off offset:1024
	v_lshrrev_b32_e32 v1, 6, v0
	v_mul_u32_u24_e32 v8, 0xc0, v1
	v_mul_u32_u24_e32 v9, 3, v10
	v_lshl_add_u32 v1, v8, 3, v11
	v_add_lshl_u32 v8, v9, v8, 3
	s_movk_i32 s2, 0x64
.LBB104_1:                              ; =>This Inner Loop Header: Depth=1
	s_waitcnt vmcnt(1)
	ds_write2st64_b64 v1, v[2:3], v[4:5] offset1:1
	s_waitcnt vmcnt(0)
	ds_write_b64 v1, v[6:7] offset:1024
	; wave barrier
	ds_read2_b64 v[2:5], v8 offset1:1
	ds_read_b64 v[6:7], v8 offset:16
	s_add_i32 s2, s2, -1
	s_cmp_lg_u32 s2, 0
	s_waitcnt lgkmcnt(0)
	s_barrier
	s_cbranch_scc1 .LBB104_1
; %bb.2:
	s_load_dwordx2 s[2:3], s[4:5], 0x10
	v_mul_u32_u24_e32 v0, 3, v0
	v_lshlrev_b32_e32 v0, 3, v0
	s_waitcnt lgkmcnt(0)
	s_add_u32 s0, s2, s0
	s_addc_u32 s1, s3, s1
	global_store_dwordx4 v0, v[2:5], s[0:1]
	global_store_dwordx2 v0, v[6:7], s[0:1] offset:16
	s_endpgm
	.section	.rodata,"a",@progbits
	.p2align	6, 0x0
	.amdhsa_kernel _Z6kernelI23warp_striped_to_blockedxLj256ELj3ELj100EEvPKT0_PKjPS1_
		.amdhsa_group_segment_fixed_size 6144
		.amdhsa_private_segment_fixed_size 0
		.amdhsa_kernarg_size 24
		.amdhsa_user_sgpr_count 6
		.amdhsa_user_sgpr_private_segment_buffer 1
		.amdhsa_user_sgpr_dispatch_ptr 0
		.amdhsa_user_sgpr_queue_ptr 0
		.amdhsa_user_sgpr_kernarg_segment_ptr 1
		.amdhsa_user_sgpr_dispatch_id 0
		.amdhsa_user_sgpr_flat_scratch_init 0
		.amdhsa_user_sgpr_kernarg_preload_length 0
		.amdhsa_user_sgpr_kernarg_preload_offset 0
		.amdhsa_user_sgpr_private_segment_size 0
		.amdhsa_uses_dynamic_stack 0
		.amdhsa_system_sgpr_private_segment_wavefront_offset 0
		.amdhsa_system_sgpr_workgroup_id_x 1
		.amdhsa_system_sgpr_workgroup_id_y 0
		.amdhsa_system_sgpr_workgroup_id_z 0
		.amdhsa_system_sgpr_workgroup_info 0
		.amdhsa_system_vgpr_workitem_id 0
		.amdhsa_next_free_vgpr 12
		.amdhsa_next_free_sgpr 7
		.amdhsa_accum_offset 12
		.amdhsa_reserve_vcc 1
		.amdhsa_reserve_flat_scratch 0
		.amdhsa_float_round_mode_32 0
		.amdhsa_float_round_mode_16_64 0
		.amdhsa_float_denorm_mode_32 3
		.amdhsa_float_denorm_mode_16_64 3
		.amdhsa_dx10_clamp 1
		.amdhsa_ieee_mode 1
		.amdhsa_fp16_overflow 0
		.amdhsa_tg_split 0
		.amdhsa_exception_fp_ieee_invalid_op 0
		.amdhsa_exception_fp_denorm_src 0
		.amdhsa_exception_fp_ieee_div_zero 0
		.amdhsa_exception_fp_ieee_overflow 0
		.amdhsa_exception_fp_ieee_underflow 0
		.amdhsa_exception_fp_ieee_inexact 0
		.amdhsa_exception_int_div_zero 0
	.end_amdhsa_kernel
	.section	.text._Z6kernelI23warp_striped_to_blockedxLj256ELj3ELj100EEvPKT0_PKjPS1_,"axG",@progbits,_Z6kernelI23warp_striped_to_blockedxLj256ELj3ELj100EEvPKT0_PKjPS1_,comdat
.Lfunc_end104:
	.size	_Z6kernelI23warp_striped_to_blockedxLj256ELj3ELj100EEvPKT0_PKjPS1_, .Lfunc_end104-_Z6kernelI23warp_striped_to_blockedxLj256ELj3ELj100EEvPKT0_PKjPS1_
                                        ; -- End function
	.section	.AMDGPU.csdata,"",@progbits
; Kernel info:
; codeLenInByte = 260
; NumSgprs: 11
; NumVgprs: 12
; NumAgprs: 0
; TotalNumVgprs: 12
; ScratchSize: 0
; MemoryBound: 0
; FloatMode: 240
; IeeeMode: 1
; LDSByteSize: 6144 bytes/workgroup (compile time only)
; SGPRBlocks: 1
; VGPRBlocks: 1
; NumSGPRsForWavesPerEU: 11
; NumVGPRsForWavesPerEU: 12
; AccumOffset: 12
; Occupancy: 8
; WaveLimiterHint : 1
; COMPUTE_PGM_RSRC2:SCRATCH_EN: 0
; COMPUTE_PGM_RSRC2:USER_SGPR: 6
; COMPUTE_PGM_RSRC2:TRAP_HANDLER: 0
; COMPUTE_PGM_RSRC2:TGID_X_EN: 1
; COMPUTE_PGM_RSRC2:TGID_Y_EN: 0
; COMPUTE_PGM_RSRC2:TGID_Z_EN: 0
; COMPUTE_PGM_RSRC2:TIDIG_COMP_CNT: 0
; COMPUTE_PGM_RSRC3_GFX90A:ACCUM_OFFSET: 2
; COMPUTE_PGM_RSRC3_GFX90A:TG_SPLIT: 0
	.section	.text._Z6kernelI23warp_striped_to_blockedxLj256ELj4ELj100EEvPKT0_PKjPS1_,"axG",@progbits,_Z6kernelI23warp_striped_to_blockedxLj256ELj4ELj100EEvPKT0_PKjPS1_,comdat
	.protected	_Z6kernelI23warp_striped_to_blockedxLj256ELj4ELj100EEvPKT0_PKjPS1_ ; -- Begin function _Z6kernelI23warp_striped_to_blockedxLj256ELj4ELj100EEvPKT0_PKjPS1_
	.globl	_Z6kernelI23warp_striped_to_blockedxLj256ELj4ELj100EEvPKT0_PKjPS1_
	.p2align	8
	.type	_Z6kernelI23warp_striped_to_blockedxLj256ELj4ELj100EEvPKT0_PKjPS1_,@function
_Z6kernelI23warp_striped_to_blockedxLj256ELj4ELj100EEvPKT0_PKjPS1_: ; @_Z6kernelI23warp_striped_to_blockedxLj256ELj4ELj100EEvPKT0_PKjPS1_
; %bb.0:
	s_load_dwordx2 s[2:3], s[4:5], 0x0
	s_lshl_b32 s0, s6, 10
	s_mov_b32 s1, 0
	s_lshl_b64 s[0:1], s[0:1], 3
	v_mbcnt_lo_u32_b32 v1, -1, 0
	s_waitcnt lgkmcnt(0)
	s_add_u32 s2, s2, s0
	v_mbcnt_hi_u32_b32 v14, -1, v1
	s_addc_u32 s3, s3, s1
	v_lshlrev_b32_e32 v1, 2, v0
	v_lshlrev_b32_e32 v2, 3, v14
	v_and_b32_e32 v12, 0x300, v1
	v_mov_b32_e32 v3, s3
	v_add_co_u32_e32 v2, vcc, s2, v2
	v_addc_co_u32_e32 v3, vcc, 0, v3, vcc
	v_lshlrev_b32_e32 v4, 3, v12
	v_add_co_u32_e32 v10, vcc, v2, v4
	v_addc_co_u32_e32 v11, vcc, 0, v3, vcc
	global_load_dwordx2 v[2:3], v[10:11], off
	global_load_dwordx2 v[4:5], v[10:11], off offset:512
	global_load_dwordx2 v[6:7], v[10:11], off offset:1024
	;; [unrolled: 1-line block ×3, first 2 shown]
	v_or_b32_e32 v13, v14, v12
	v_lshrrev_b32_e32 v10, 2, v13
	v_lshlrev_b32_e32 v15, 3, v13
	v_add_u32_e32 v11, 64, v13
	v_or_b32_e32 v12, 0x80, v13
	v_add_u32_e32 v13, 0xc0, v13
	v_and_b32_e32 v0, 0xc0, v0
	v_lshrrev_b32_e32 v11, 2, v11
	v_lshrrev_b32_e32 v12, 2, v12
	;; [unrolled: 1-line block ×3, first 2 shown]
	v_add_u32_e32 v0, v14, v0
	v_and_b32_e32 v10, 0xd8, v10
	v_and_b32_e32 v11, 0xf8, v11
	;; [unrolled: 1-line block ×4, first 2 shown]
	v_lshlrev_b32_e32 v14, 2, v0
	v_bfe_u32 v0, v0, 3, 27
	v_add_u32_e32 v10, v10, v15
	v_add_u32_e32 v11, v11, v15
	;; [unrolled: 1-line block ×4, first 2 shown]
	v_add_lshl_u32 v0, v0, v14, 3
	s_movk_i32 s2, 0x64
.LBB105_1:                              ; =>This Inner Loop Header: Depth=1
	s_waitcnt vmcnt(3)
	ds_write_b64 v10, v[2:3]
	s_waitcnt vmcnt(2)
	ds_write_b64 v11, v[4:5] offset:512
	s_waitcnt vmcnt(1)
	ds_write_b64 v12, v[6:7] offset:1024
	;; [unrolled: 2-line block ×3, first 2 shown]
	; wave barrier
	ds_read2_b64 v[2:5], v0 offset1:1
	ds_read2_b64 v[6:9], v0 offset0:2 offset1:3
	s_add_i32 s2, s2, -1
	s_cmp_lg_u32 s2, 0
	s_waitcnt lgkmcnt(0)
	s_barrier
	s_cbranch_scc1 .LBB105_1
; %bb.2:
	s_load_dwordx2 s[2:3], s[4:5], 0x10
	v_lshlrev_b32_e32 v0, 3, v1
	s_waitcnt lgkmcnt(0)
	s_add_u32 s0, s2, s0
	s_addc_u32 s1, s3, s1
	global_store_dwordx4 v0, v[2:5], s[0:1]
	global_store_dwordx4 v0, v[6:9], s[0:1] offset:16
	s_endpgm
	.section	.rodata,"a",@progbits
	.p2align	6, 0x0
	.amdhsa_kernel _Z6kernelI23warp_striped_to_blockedxLj256ELj4ELj100EEvPKT0_PKjPS1_
		.amdhsa_group_segment_fixed_size 8448
		.amdhsa_private_segment_fixed_size 0
		.amdhsa_kernarg_size 24
		.amdhsa_user_sgpr_count 6
		.amdhsa_user_sgpr_private_segment_buffer 1
		.amdhsa_user_sgpr_dispatch_ptr 0
		.amdhsa_user_sgpr_queue_ptr 0
		.amdhsa_user_sgpr_kernarg_segment_ptr 1
		.amdhsa_user_sgpr_dispatch_id 0
		.amdhsa_user_sgpr_flat_scratch_init 0
		.amdhsa_user_sgpr_kernarg_preload_length 0
		.amdhsa_user_sgpr_kernarg_preload_offset 0
		.amdhsa_user_sgpr_private_segment_size 0
		.amdhsa_uses_dynamic_stack 0
		.amdhsa_system_sgpr_private_segment_wavefront_offset 0
		.amdhsa_system_sgpr_workgroup_id_x 1
		.amdhsa_system_sgpr_workgroup_id_y 0
		.amdhsa_system_sgpr_workgroup_id_z 0
		.amdhsa_system_sgpr_workgroup_info 0
		.amdhsa_system_vgpr_workitem_id 0
		.amdhsa_next_free_vgpr 16
		.amdhsa_next_free_sgpr 7
		.amdhsa_accum_offset 16
		.amdhsa_reserve_vcc 1
		.amdhsa_reserve_flat_scratch 0
		.amdhsa_float_round_mode_32 0
		.amdhsa_float_round_mode_16_64 0
		.amdhsa_float_denorm_mode_32 3
		.amdhsa_float_denorm_mode_16_64 3
		.amdhsa_dx10_clamp 1
		.amdhsa_ieee_mode 1
		.amdhsa_fp16_overflow 0
		.amdhsa_tg_split 0
		.amdhsa_exception_fp_ieee_invalid_op 0
		.amdhsa_exception_fp_denorm_src 0
		.amdhsa_exception_fp_ieee_div_zero 0
		.amdhsa_exception_fp_ieee_overflow 0
		.amdhsa_exception_fp_ieee_underflow 0
		.amdhsa_exception_fp_ieee_inexact 0
		.amdhsa_exception_int_div_zero 0
	.end_amdhsa_kernel
	.section	.text._Z6kernelI23warp_striped_to_blockedxLj256ELj4ELj100EEvPKT0_PKjPS1_,"axG",@progbits,_Z6kernelI23warp_striped_to_blockedxLj256ELj4ELj100EEvPKT0_PKjPS1_,comdat
.Lfunc_end105:
	.size	_Z6kernelI23warp_striped_to_blockedxLj256ELj4ELj100EEvPKT0_PKjPS1_, .Lfunc_end105-_Z6kernelI23warp_striped_to_blockedxLj256ELj4ELj100EEvPKT0_PKjPS1_
                                        ; -- End function
	.section	.AMDGPU.csdata,"",@progbits
; Kernel info:
; codeLenInByte = 376
; NumSgprs: 11
; NumVgprs: 16
; NumAgprs: 0
; TotalNumVgprs: 16
; ScratchSize: 0
; MemoryBound: 0
; FloatMode: 240
; IeeeMode: 1
; LDSByteSize: 8448 bytes/workgroup (compile time only)
; SGPRBlocks: 1
; VGPRBlocks: 1
; NumSGPRsForWavesPerEU: 11
; NumVGPRsForWavesPerEU: 16
; AccumOffset: 16
; Occupancy: 7
; WaveLimiterHint : 1
; COMPUTE_PGM_RSRC2:SCRATCH_EN: 0
; COMPUTE_PGM_RSRC2:USER_SGPR: 6
; COMPUTE_PGM_RSRC2:TRAP_HANDLER: 0
; COMPUTE_PGM_RSRC2:TGID_X_EN: 1
; COMPUTE_PGM_RSRC2:TGID_Y_EN: 0
; COMPUTE_PGM_RSRC2:TGID_Z_EN: 0
; COMPUTE_PGM_RSRC2:TIDIG_COMP_CNT: 0
; COMPUTE_PGM_RSRC3_GFX90A:ACCUM_OFFSET: 3
; COMPUTE_PGM_RSRC3_GFX90A:TG_SPLIT: 0
	.section	.text._Z6kernelI23warp_striped_to_blockedxLj256ELj7ELj100EEvPKT0_PKjPS1_,"axG",@progbits,_Z6kernelI23warp_striped_to_blockedxLj256ELj7ELj100EEvPKT0_PKjPS1_,comdat
	.protected	_Z6kernelI23warp_striped_to_blockedxLj256ELj7ELj100EEvPKT0_PKjPS1_ ; -- Begin function _Z6kernelI23warp_striped_to_blockedxLj256ELj7ELj100EEvPKT0_PKjPS1_
	.globl	_Z6kernelI23warp_striped_to_blockedxLj256ELj7ELj100EEvPKT0_PKjPS1_
	.p2align	8
	.type	_Z6kernelI23warp_striped_to_blockedxLj256ELj7ELj100EEvPKT0_PKjPS1_,@function
_Z6kernelI23warp_striped_to_blockedxLj256ELj7ELj100EEvPKT0_PKjPS1_: ; @_Z6kernelI23warp_striped_to_blockedxLj256ELj7ELj100EEvPKT0_PKjPS1_
; %bb.0:
	s_load_dwordx2 s[2:3], s[4:5], 0x0
	s_mul_i32 s0, s6, 0x700
	s_mov_b32 s1, 0
	s_lshl_b64 s[0:1], s[0:1], 3
	v_mbcnt_lo_u32_b32 v1, -1, 0
	s_waitcnt lgkmcnt(0)
	s_add_u32 s2, s2, s0
	v_mbcnt_hi_u32_b32 v18, -1, v1
	s_addc_u32 s3, s3, s1
	v_and_b32_e32 v1, 0xc0, v0
	v_lshlrev_b32_e32 v19, 3, v18
	v_mul_u32_u24_e32 v1, 7, v1
	v_mov_b32_e32 v2, s3
	v_add_co_u32_e32 v3, vcc, s2, v19
	v_addc_co_u32_e32 v2, vcc, 0, v2, vcc
	v_lshlrev_b32_e32 v1, 3, v1
	v_add_co_u32_e32 v16, vcc, v3, v1
	v_addc_co_u32_e32 v17, vcc, 0, v2, vcc
	global_load_dwordx2 v[2:3], v[16:17], off
	global_load_dwordx2 v[4:5], v[16:17], off offset:512
	global_load_dwordx2 v[6:7], v[16:17], off offset:1024
	;; [unrolled: 1-line block ×6, first 2 shown]
	v_lshrrev_b32_e32 v1, 6, v0
	v_mul_u32_u24_e32 v16, 0x1c0, v1
	v_mul_u32_u24_e32 v17, 7, v18
	v_lshl_add_u32 v1, v16, 3, v19
	v_add_lshl_u32 v16, v17, v16, 3
	s_movk_i32 s2, 0x64
.LBB106_1:                              ; =>This Inner Loop Header: Depth=1
	s_waitcnt vmcnt(5)
	ds_write2st64_b64 v1, v[2:3], v[4:5] offset1:1
	s_waitcnt vmcnt(3)
	ds_write2st64_b64 v1, v[6:7], v[8:9] offset0:2 offset1:3
	s_waitcnt vmcnt(1)
	ds_write2st64_b64 v1, v[10:11], v[12:13] offset0:4 offset1:5
	s_waitcnt vmcnt(0)
	ds_write_b64 v1, v[14:15] offset:3072
	; wave barrier
	ds_read2_b64 v[2:5], v16 offset1:1
	ds_read2_b64 v[6:9], v16 offset0:2 offset1:3
	ds_read2_b64 v[10:13], v16 offset0:4 offset1:5
	ds_read_b64 v[14:15], v16 offset:48
	s_add_i32 s2, s2, -1
	s_cmp_lg_u32 s2, 0
	s_waitcnt lgkmcnt(0)
	s_barrier
	s_cbranch_scc1 .LBB106_1
; %bb.2:
	s_load_dwordx2 s[2:3], s[4:5], 0x10
	v_mul_u32_u24_e32 v0, 7, v0
	v_lshlrev_b32_e32 v0, 3, v0
	s_waitcnt lgkmcnt(0)
	s_add_u32 s0, s2, s0
	s_addc_u32 s1, s3, s1
	global_store_dwordx4 v0, v[2:5], s[0:1]
	global_store_dwordx4 v0, v[6:9], s[0:1] offset:16
	global_store_dwordx4 v0, v[10:13], s[0:1] offset:32
	global_store_dwordx2 v0, v[14:15], s[0:1] offset:48
	s_endpgm
	.section	.rodata,"a",@progbits
	.p2align	6, 0x0
	.amdhsa_kernel _Z6kernelI23warp_striped_to_blockedxLj256ELj7ELj100EEvPKT0_PKjPS1_
		.amdhsa_group_segment_fixed_size 14336
		.amdhsa_private_segment_fixed_size 0
		.amdhsa_kernarg_size 24
		.amdhsa_user_sgpr_count 6
		.amdhsa_user_sgpr_private_segment_buffer 1
		.amdhsa_user_sgpr_dispatch_ptr 0
		.amdhsa_user_sgpr_queue_ptr 0
		.amdhsa_user_sgpr_kernarg_segment_ptr 1
		.amdhsa_user_sgpr_dispatch_id 0
		.amdhsa_user_sgpr_flat_scratch_init 0
		.amdhsa_user_sgpr_kernarg_preload_length 0
		.amdhsa_user_sgpr_kernarg_preload_offset 0
		.amdhsa_user_sgpr_private_segment_size 0
		.amdhsa_uses_dynamic_stack 0
		.amdhsa_system_sgpr_private_segment_wavefront_offset 0
		.amdhsa_system_sgpr_workgroup_id_x 1
		.amdhsa_system_sgpr_workgroup_id_y 0
		.amdhsa_system_sgpr_workgroup_id_z 0
		.amdhsa_system_sgpr_workgroup_info 0
		.amdhsa_system_vgpr_workitem_id 0
		.amdhsa_next_free_vgpr 20
		.amdhsa_next_free_sgpr 7
		.amdhsa_accum_offset 20
		.amdhsa_reserve_vcc 1
		.amdhsa_reserve_flat_scratch 0
		.amdhsa_float_round_mode_32 0
		.amdhsa_float_round_mode_16_64 0
		.amdhsa_float_denorm_mode_32 3
		.amdhsa_float_denorm_mode_16_64 3
		.amdhsa_dx10_clamp 1
		.amdhsa_ieee_mode 1
		.amdhsa_fp16_overflow 0
		.amdhsa_tg_split 0
		.amdhsa_exception_fp_ieee_invalid_op 0
		.amdhsa_exception_fp_denorm_src 0
		.amdhsa_exception_fp_ieee_div_zero 0
		.amdhsa_exception_fp_ieee_overflow 0
		.amdhsa_exception_fp_ieee_underflow 0
		.amdhsa_exception_fp_ieee_inexact 0
		.amdhsa_exception_int_div_zero 0
	.end_amdhsa_kernel
	.section	.text._Z6kernelI23warp_striped_to_blockedxLj256ELj7ELj100EEvPKT0_PKjPS1_,"axG",@progbits,_Z6kernelI23warp_striped_to_blockedxLj256ELj7ELj100EEvPKT0_PKjPS1_,comdat
.Lfunc_end106:
	.size	_Z6kernelI23warp_striped_to_blockedxLj256ELj7ELj100EEvPKT0_PKjPS1_, .Lfunc_end106-_Z6kernelI23warp_striped_to_blockedxLj256ELj7ELj100EEvPKT0_PKjPS1_
                                        ; -- End function
	.section	.AMDGPU.csdata,"",@progbits
; Kernel info:
; codeLenInByte = 348
; NumSgprs: 11
; NumVgprs: 20
; NumAgprs: 0
; TotalNumVgprs: 20
; ScratchSize: 0
; MemoryBound: 0
; FloatMode: 240
; IeeeMode: 1
; LDSByteSize: 14336 bytes/workgroup (compile time only)
; SGPRBlocks: 1
; VGPRBlocks: 2
; NumSGPRsForWavesPerEU: 11
; NumVGPRsForWavesPerEU: 20
; AccumOffset: 20
; Occupancy: 4
; WaveLimiterHint : 1
; COMPUTE_PGM_RSRC2:SCRATCH_EN: 0
; COMPUTE_PGM_RSRC2:USER_SGPR: 6
; COMPUTE_PGM_RSRC2:TRAP_HANDLER: 0
; COMPUTE_PGM_RSRC2:TGID_X_EN: 1
; COMPUTE_PGM_RSRC2:TGID_Y_EN: 0
; COMPUTE_PGM_RSRC2:TGID_Z_EN: 0
; COMPUTE_PGM_RSRC2:TIDIG_COMP_CNT: 0
; COMPUTE_PGM_RSRC3_GFX90A:ACCUM_OFFSET: 4
; COMPUTE_PGM_RSRC3_GFX90A:TG_SPLIT: 0
	.section	.text._Z6kernelI23warp_striped_to_blockedxLj256ELj8ELj100EEvPKT0_PKjPS1_,"axG",@progbits,_Z6kernelI23warp_striped_to_blockedxLj256ELj8ELj100EEvPKT0_PKjPS1_,comdat
	.protected	_Z6kernelI23warp_striped_to_blockedxLj256ELj8ELj100EEvPKT0_PKjPS1_ ; -- Begin function _Z6kernelI23warp_striped_to_blockedxLj256ELj8ELj100EEvPKT0_PKjPS1_
	.globl	_Z6kernelI23warp_striped_to_blockedxLj256ELj8ELj100EEvPKT0_PKjPS1_
	.p2align	8
	.type	_Z6kernelI23warp_striped_to_blockedxLj256ELj8ELj100EEvPKT0_PKjPS1_,@function
_Z6kernelI23warp_striped_to_blockedxLj256ELj8ELj100EEvPKT0_PKjPS1_: ; @_Z6kernelI23warp_striped_to_blockedxLj256ELj8ELj100EEvPKT0_PKjPS1_
; %bb.0:
	s_load_dwordx2 s[2:3], s[4:5], 0x0
	s_lshl_b32 s0, s6, 11
	s_mov_b32 s1, 0
	s_lshl_b64 s[0:1], s[0:1], 3
	v_mbcnt_lo_u32_b32 v1, -1, 0
	s_waitcnt lgkmcnt(0)
	s_add_u32 s2, s2, s0
	v_mbcnt_hi_u32_b32 v26, -1, v1
	s_addc_u32 s3, s3, s1
	v_lshlrev_b32_e32 v1, 3, v0
	v_lshlrev_b32_e32 v2, 3, v26
	v_and_b32_e32 v20, 0x600, v1
	v_mov_b32_e32 v3, s3
	v_add_co_u32_e32 v2, vcc, s2, v2
	v_addc_co_u32_e32 v3, vcc, 0, v3, vcc
	v_lshlrev_b32_e32 v4, 3, v20
	v_add_co_u32_e32 v18, vcc, v2, v4
	v_addc_co_u32_e32 v19, vcc, 0, v3, vcc
	global_load_dwordx2 v[2:3], v[18:19], off
	global_load_dwordx2 v[4:5], v[18:19], off offset:512
	global_load_dwordx2 v[6:7], v[18:19], off offset:1024
	;; [unrolled: 1-line block ×7, first 2 shown]
	v_or_b32_e32 v25, v26, v20
	v_lshrrev_b32_e32 v18, 2, v25
	v_lshlrev_b32_e32 v27, 3, v25
	v_add_u32_e32 v19, 64, v25
	v_or_b32_e32 v20, 0x80, v25
	v_add_u32_e32 v21, 0xc0, v25
	v_or_b32_e32 v22, 0x100, v25
	;; [unrolled: 2-line block ×3, first 2 shown]
	v_add_u32_e32 v25, 0x1c0, v25
	v_and_b32_e32 v0, 0xc0, v0
	v_lshrrev_b32_e32 v19, 2, v19
	v_lshrrev_b32_e32 v20, 2, v20
	;; [unrolled: 1-line block ×7, first 2 shown]
	v_add_u32_e32 v0, v26, v0
	v_and_b32_e32 v18, 0x198, v18
	v_and_b32_e32 v19, 0x1b8, v19
	;; [unrolled: 1-line block ×8, first 2 shown]
	v_lshlrev_b32_e32 v26, 3, v0
	v_bfe_u32 v0, v0, 2, 27
	v_add_u32_e32 v18, v18, v27
	v_add_u32_e32 v19, v19, v27
	;; [unrolled: 1-line block ×8, first 2 shown]
	v_add_lshl_u32 v0, v0, v26, 3
	s_movk_i32 s2, 0x64
.LBB107_1:                              ; =>This Inner Loop Header: Depth=1
	s_waitcnt vmcnt(7)
	ds_write_b64 v18, v[2:3]
	s_waitcnt vmcnt(6)
	ds_write_b64 v19, v[4:5] offset:512
	s_waitcnt vmcnt(5)
	ds_write_b64 v20, v[6:7] offset:1024
	;; [unrolled: 2-line block ×7, first 2 shown]
	; wave barrier
	ds_read2_b64 v[2:5], v0 offset1:1
	ds_read2_b64 v[6:9], v0 offset0:2 offset1:3
	ds_read2_b64 v[10:13], v0 offset0:4 offset1:5
	;; [unrolled: 1-line block ×3, first 2 shown]
	s_add_i32 s2, s2, -1
	s_cmp_lg_u32 s2, 0
	s_waitcnt lgkmcnt(0)
	s_barrier
	s_cbranch_scc1 .LBB107_1
; %bb.2:
	s_load_dwordx2 s[2:3], s[4:5], 0x10
	v_lshlrev_b32_e32 v0, 3, v1
	s_waitcnt lgkmcnt(0)
	s_add_u32 s0, s2, s0
	s_addc_u32 s1, s3, s1
	global_store_dwordx4 v0, v[2:5], s[0:1]
	global_store_dwordx4 v0, v[6:9], s[0:1] offset:16
	global_store_dwordx4 v0, v[10:13], s[0:1] offset:32
	;; [unrolled: 1-line block ×3, first 2 shown]
	s_endpgm
	.section	.rodata,"a",@progbits
	.p2align	6, 0x0
	.amdhsa_kernel _Z6kernelI23warp_striped_to_blockedxLj256ELj8ELj100EEvPKT0_PKjPS1_
		.amdhsa_group_segment_fixed_size 16896
		.amdhsa_private_segment_fixed_size 0
		.amdhsa_kernarg_size 24
		.amdhsa_user_sgpr_count 6
		.amdhsa_user_sgpr_private_segment_buffer 1
		.amdhsa_user_sgpr_dispatch_ptr 0
		.amdhsa_user_sgpr_queue_ptr 0
		.amdhsa_user_sgpr_kernarg_segment_ptr 1
		.amdhsa_user_sgpr_dispatch_id 0
		.amdhsa_user_sgpr_flat_scratch_init 0
		.amdhsa_user_sgpr_kernarg_preload_length 0
		.amdhsa_user_sgpr_kernarg_preload_offset 0
		.amdhsa_user_sgpr_private_segment_size 0
		.amdhsa_uses_dynamic_stack 0
		.amdhsa_system_sgpr_private_segment_wavefront_offset 0
		.amdhsa_system_sgpr_workgroup_id_x 1
		.amdhsa_system_sgpr_workgroup_id_y 0
		.amdhsa_system_sgpr_workgroup_id_z 0
		.amdhsa_system_sgpr_workgroup_info 0
		.amdhsa_system_vgpr_workitem_id 0
		.amdhsa_next_free_vgpr 28
		.amdhsa_next_free_sgpr 7
		.amdhsa_accum_offset 28
		.amdhsa_reserve_vcc 1
		.amdhsa_reserve_flat_scratch 0
		.amdhsa_float_round_mode_32 0
		.amdhsa_float_round_mode_16_64 0
		.amdhsa_float_denorm_mode_32 3
		.amdhsa_float_denorm_mode_16_64 3
		.amdhsa_dx10_clamp 1
		.amdhsa_ieee_mode 1
		.amdhsa_fp16_overflow 0
		.amdhsa_tg_split 0
		.amdhsa_exception_fp_ieee_invalid_op 0
		.amdhsa_exception_fp_denorm_src 0
		.amdhsa_exception_fp_ieee_div_zero 0
		.amdhsa_exception_fp_ieee_overflow 0
		.amdhsa_exception_fp_ieee_underflow 0
		.amdhsa_exception_fp_ieee_inexact 0
		.amdhsa_exception_int_div_zero 0
	.end_amdhsa_kernel
	.section	.text._Z6kernelI23warp_striped_to_blockedxLj256ELj8ELj100EEvPKT0_PKjPS1_,"axG",@progbits,_Z6kernelI23warp_striped_to_blockedxLj256ELj8ELj100EEvPKT0_PKjPS1_,comdat
.Lfunc_end107:
	.size	_Z6kernelI23warp_striped_to_blockedxLj256ELj8ELj100EEvPKT0_PKjPS1_, .Lfunc_end107-_Z6kernelI23warp_striped_to_blockedxLj256ELj8ELj100EEvPKT0_PKjPS1_
                                        ; -- End function
	.section	.AMDGPU.csdata,"",@progbits
; Kernel info:
; codeLenInByte = 584
; NumSgprs: 11
; NumVgprs: 28
; NumAgprs: 0
; TotalNumVgprs: 28
; ScratchSize: 0
; MemoryBound: 0
; FloatMode: 240
; IeeeMode: 1
; LDSByteSize: 16896 bytes/workgroup (compile time only)
; SGPRBlocks: 1
; VGPRBlocks: 3
; NumSGPRsForWavesPerEU: 11
; NumVGPRsForWavesPerEU: 28
; AccumOffset: 28
; Occupancy: 3
; WaveLimiterHint : 1
; COMPUTE_PGM_RSRC2:SCRATCH_EN: 0
; COMPUTE_PGM_RSRC2:USER_SGPR: 6
; COMPUTE_PGM_RSRC2:TRAP_HANDLER: 0
; COMPUTE_PGM_RSRC2:TGID_X_EN: 1
; COMPUTE_PGM_RSRC2:TGID_Y_EN: 0
; COMPUTE_PGM_RSRC2:TGID_Z_EN: 0
; COMPUTE_PGM_RSRC2:TIDIG_COMP_CNT: 0
; COMPUTE_PGM_RSRC3_GFX90A:ACCUM_OFFSET: 6
; COMPUTE_PGM_RSRC3_GFX90A:TG_SPLIT: 0
	.section	.text._Z6kernelI23warp_striped_to_blockedN15benchmark_utils11custom_typeIffEELj256ELj1ELj100EEvPKT0_PKjPS4_,"axG",@progbits,_Z6kernelI23warp_striped_to_blockedN15benchmark_utils11custom_typeIffEELj256ELj1ELj100EEvPKT0_PKjPS4_,comdat
	.protected	_Z6kernelI23warp_striped_to_blockedN15benchmark_utils11custom_typeIffEELj256ELj1ELj100EEvPKT0_PKjPS4_ ; -- Begin function _Z6kernelI23warp_striped_to_blockedN15benchmark_utils11custom_typeIffEELj256ELj1ELj100EEvPKT0_PKjPS4_
	.globl	_Z6kernelI23warp_striped_to_blockedN15benchmark_utils11custom_typeIffEELj256ELj1ELj100EEvPKT0_PKjPS4_
	.p2align	8
	.type	_Z6kernelI23warp_striped_to_blockedN15benchmark_utils11custom_typeIffEELj256ELj1ELj100EEvPKT0_PKjPS4_,@function
_Z6kernelI23warp_striped_to_blockedN15benchmark_utils11custom_typeIffEELj256ELj1ELj100EEvPKT0_PKjPS4_: ; @_Z6kernelI23warp_striped_to_blockedN15benchmark_utils11custom_typeIffEELj256ELj1ELj100EEvPKT0_PKjPS4_
; %bb.0:
	s_load_dwordx2 s[2:3], s[4:5], 0x0
	s_lshl_b32 s0, s6, 8
	s_mov_b32 s1, 0
	s_lshl_b64 s[0:1], s[0:1], 3
	v_mbcnt_lo_u32_b32 v1, -1, 0
	s_waitcnt lgkmcnt(0)
	s_add_u32 s2, s2, s0
	v_mbcnt_hi_u32_b32 v1, -1, v1
	s_addc_u32 s3, s3, s1
	v_lshlrev_b32_e32 v1, 3, v1
	v_and_b32_e32 v2, 0xc0, v0
	v_mov_b32_e32 v3, s3
	v_add_co_u32_e32 v4, vcc, s2, v1
	v_addc_co_u32_e32 v3, vcc, 0, v3, vcc
	v_lshlrev_b32_e32 v5, 3, v2
	v_add_co_u32_e32 v2, vcc, v4, v5
	v_addc_co_u32_e32 v3, vcc, 0, v3, vcc
	global_load_dwordx2 v[2:3], v[2:3], off
	v_add_u32_e32 v1, v1, v5
	s_movk_i32 s2, 0x64
.LBB108_1:                              ; =>This Inner Loop Header: Depth=1
	s_waitcnt vmcnt(0)
	ds_write_b64 v1, v[2:3]
	; wave barrier
	ds_read_b64 v[2:3], v1
	s_add_i32 s2, s2, -1
	s_cmp_lg_u32 s2, 0
	s_waitcnt lgkmcnt(0)
	s_barrier
	s_cbranch_scc1 .LBB108_1
; %bb.2:
	s_load_dwordx2 s[2:3], s[4:5], 0x10
	v_lshlrev_b32_e32 v0, 3, v0
	s_waitcnt lgkmcnt(0)
	s_add_u32 s0, s2, s0
	s_addc_u32 s1, s3, s1
	global_store_dwordx2 v0, v[2:3], s[0:1]
	s_endpgm
	.section	.rodata,"a",@progbits
	.p2align	6, 0x0
	.amdhsa_kernel _Z6kernelI23warp_striped_to_blockedN15benchmark_utils11custom_typeIffEELj256ELj1ELj100EEvPKT0_PKjPS4_
		.amdhsa_group_segment_fixed_size 2048
		.amdhsa_private_segment_fixed_size 0
		.amdhsa_kernarg_size 24
		.amdhsa_user_sgpr_count 6
		.amdhsa_user_sgpr_private_segment_buffer 1
		.amdhsa_user_sgpr_dispatch_ptr 0
		.amdhsa_user_sgpr_queue_ptr 0
		.amdhsa_user_sgpr_kernarg_segment_ptr 1
		.amdhsa_user_sgpr_dispatch_id 0
		.amdhsa_user_sgpr_flat_scratch_init 0
		.amdhsa_user_sgpr_kernarg_preload_length 0
		.amdhsa_user_sgpr_kernarg_preload_offset 0
		.amdhsa_user_sgpr_private_segment_size 0
		.amdhsa_uses_dynamic_stack 0
		.amdhsa_system_sgpr_private_segment_wavefront_offset 0
		.amdhsa_system_sgpr_workgroup_id_x 1
		.amdhsa_system_sgpr_workgroup_id_y 0
		.amdhsa_system_sgpr_workgroup_id_z 0
		.amdhsa_system_sgpr_workgroup_info 0
		.amdhsa_system_vgpr_workitem_id 0
		.amdhsa_next_free_vgpr 6
		.amdhsa_next_free_sgpr 7
		.amdhsa_accum_offset 8
		.amdhsa_reserve_vcc 1
		.amdhsa_reserve_flat_scratch 0
		.amdhsa_float_round_mode_32 0
		.amdhsa_float_round_mode_16_64 0
		.amdhsa_float_denorm_mode_32 3
		.amdhsa_float_denorm_mode_16_64 3
		.amdhsa_dx10_clamp 1
		.amdhsa_ieee_mode 1
		.amdhsa_fp16_overflow 0
		.amdhsa_tg_split 0
		.amdhsa_exception_fp_ieee_invalid_op 0
		.amdhsa_exception_fp_denorm_src 0
		.amdhsa_exception_fp_ieee_div_zero 0
		.amdhsa_exception_fp_ieee_overflow 0
		.amdhsa_exception_fp_ieee_underflow 0
		.amdhsa_exception_fp_ieee_inexact 0
		.amdhsa_exception_int_div_zero 0
	.end_amdhsa_kernel
	.section	.text._Z6kernelI23warp_striped_to_blockedN15benchmark_utils11custom_typeIffEELj256ELj1ELj100EEvPKT0_PKjPS4_,"axG",@progbits,_Z6kernelI23warp_striped_to_blockedN15benchmark_utils11custom_typeIffEELj256ELj1ELj100EEvPKT0_PKjPS4_,comdat
.Lfunc_end108:
	.size	_Z6kernelI23warp_striped_to_blockedN15benchmark_utils11custom_typeIffEELj256ELj1ELj100EEvPKT0_PKjPS4_, .Lfunc_end108-_Z6kernelI23warp_striped_to_blockedN15benchmark_utils11custom_typeIffEELj256ELj1ELj100EEvPKT0_PKjPS4_
                                        ; -- End function
	.section	.AMDGPU.csdata,"",@progbits
; Kernel info:
; codeLenInByte = 176
; NumSgprs: 11
; NumVgprs: 6
; NumAgprs: 0
; TotalNumVgprs: 6
; ScratchSize: 0
; MemoryBound: 0
; FloatMode: 240
; IeeeMode: 1
; LDSByteSize: 2048 bytes/workgroup (compile time only)
; SGPRBlocks: 1
; VGPRBlocks: 0
; NumSGPRsForWavesPerEU: 11
; NumVGPRsForWavesPerEU: 6
; AccumOffset: 8
; Occupancy: 8
; WaveLimiterHint : 0
; COMPUTE_PGM_RSRC2:SCRATCH_EN: 0
; COMPUTE_PGM_RSRC2:USER_SGPR: 6
; COMPUTE_PGM_RSRC2:TRAP_HANDLER: 0
; COMPUTE_PGM_RSRC2:TGID_X_EN: 1
; COMPUTE_PGM_RSRC2:TGID_Y_EN: 0
; COMPUTE_PGM_RSRC2:TGID_Z_EN: 0
; COMPUTE_PGM_RSRC2:TIDIG_COMP_CNT: 0
; COMPUTE_PGM_RSRC3_GFX90A:ACCUM_OFFSET: 1
; COMPUTE_PGM_RSRC3_GFX90A:TG_SPLIT: 0
	.section	.text._Z6kernelI23warp_striped_to_blockedN15benchmark_utils11custom_typeIffEELj256ELj2ELj100EEvPKT0_PKjPS4_,"axG",@progbits,_Z6kernelI23warp_striped_to_blockedN15benchmark_utils11custom_typeIffEELj256ELj2ELj100EEvPKT0_PKjPS4_,comdat
	.protected	_Z6kernelI23warp_striped_to_blockedN15benchmark_utils11custom_typeIffEELj256ELj2ELj100EEvPKT0_PKjPS4_ ; -- Begin function _Z6kernelI23warp_striped_to_blockedN15benchmark_utils11custom_typeIffEELj256ELj2ELj100EEvPKT0_PKjPS4_
	.globl	_Z6kernelI23warp_striped_to_blockedN15benchmark_utils11custom_typeIffEELj256ELj2ELj100EEvPKT0_PKjPS4_
	.p2align	8
	.type	_Z6kernelI23warp_striped_to_blockedN15benchmark_utils11custom_typeIffEELj256ELj2ELj100EEvPKT0_PKjPS4_,@function
_Z6kernelI23warp_striped_to_blockedN15benchmark_utils11custom_typeIffEELj256ELj2ELj100EEvPKT0_PKjPS4_: ; @_Z6kernelI23warp_striped_to_blockedN15benchmark_utils11custom_typeIffEELj256ELj2ELj100EEvPKT0_PKjPS4_
; %bb.0:
	s_load_dwordx2 s[2:3], s[4:5], 0x0
	s_lshl_b32 s0, s6, 9
	s_mov_b32 s1, 0
	s_lshl_b64 s[0:1], s[0:1], 3
	v_mbcnt_lo_u32_b32 v1, -1, 0
	s_waitcnt lgkmcnt(0)
	s_add_u32 s2, s2, s0
	v_mbcnt_hi_u32_b32 v8, -1, v1
	s_addc_u32 s3, s3, s1
	v_lshlrev_b32_e32 v1, 1, v0
	v_lshlrev_b32_e32 v2, 3, v8
	v_and_b32_e32 v9, 0x180, v1
	v_mov_b32_e32 v3, s3
	v_add_co_u32_e32 v2, vcc, s2, v2
	v_addc_co_u32_e32 v3, vcc, 0, v3, vcc
	v_lshlrev_b32_e32 v4, 3, v9
	v_add_co_u32_e32 v6, vcc, v2, v4
	v_addc_co_u32_e32 v7, vcc, 0, v3, vcc
	global_load_dwordx2 v[2:3], v[6:7], off
	global_load_dwordx2 v[4:5], v[6:7], off offset:512
	v_or_b32_e32 v7, v8, v9
	v_lshrrev_b32_e32 v6, 2, v7
	v_lshlrev_b32_e32 v9, 3, v7
	v_add_u32_e32 v7, 64, v7
	v_and_b32_e32 v0, 0xc0, v0
	v_lshrrev_b32_e32 v7, 2, v7
	v_add_u32_e32 v0, v8, v0
	v_and_b32_e32 v6, 0x78, v6
	v_and_b32_e32 v7, 0xf8, v7
	v_lshlrev_b32_e32 v8, 1, v0
	v_bfe_u32 v0, v0, 4, 27
	v_add_u32_e32 v6, v6, v9
	v_add_u32_e32 v7, v7, v9
	v_add_lshl_u32 v0, v0, v8, 3
	s_movk_i32 s2, 0x64
.LBB109_1:                              ; =>This Inner Loop Header: Depth=1
	s_waitcnt vmcnt(1)
	ds_write_b64 v6, v[2:3]
	s_waitcnt vmcnt(0)
	ds_write_b64 v7, v[4:5] offset:512
	; wave barrier
	ds_read2_b64 v[2:5], v0 offset1:1
	s_add_i32 s2, s2, -1
	s_cmp_lg_u32 s2, 0
	s_waitcnt lgkmcnt(0)
	s_barrier
	s_cbranch_scc1 .LBB109_1
; %bb.2:
	s_load_dwordx2 s[2:3], s[4:5], 0x10
	v_lshlrev_b32_e32 v0, 3, v1
	s_waitcnt lgkmcnt(0)
	s_add_u32 s0, s2, s0
	s_addc_u32 s1, s3, s1
	global_store_dwordx4 v0, v[2:5], s[0:1]
	s_endpgm
	.section	.rodata,"a",@progbits
	.p2align	6, 0x0
	.amdhsa_kernel _Z6kernelI23warp_striped_to_blockedN15benchmark_utils11custom_typeIffEELj256ELj2ELj100EEvPKT0_PKjPS4_
		.amdhsa_group_segment_fixed_size 4224
		.amdhsa_private_segment_fixed_size 0
		.amdhsa_kernarg_size 24
		.amdhsa_user_sgpr_count 6
		.amdhsa_user_sgpr_private_segment_buffer 1
		.amdhsa_user_sgpr_dispatch_ptr 0
		.amdhsa_user_sgpr_queue_ptr 0
		.amdhsa_user_sgpr_kernarg_segment_ptr 1
		.amdhsa_user_sgpr_dispatch_id 0
		.amdhsa_user_sgpr_flat_scratch_init 0
		.amdhsa_user_sgpr_kernarg_preload_length 0
		.amdhsa_user_sgpr_kernarg_preload_offset 0
		.amdhsa_user_sgpr_private_segment_size 0
		.amdhsa_uses_dynamic_stack 0
		.amdhsa_system_sgpr_private_segment_wavefront_offset 0
		.amdhsa_system_sgpr_workgroup_id_x 1
		.amdhsa_system_sgpr_workgroup_id_y 0
		.amdhsa_system_sgpr_workgroup_id_z 0
		.amdhsa_system_sgpr_workgroup_info 0
		.amdhsa_system_vgpr_workitem_id 0
		.amdhsa_next_free_vgpr 10
		.amdhsa_next_free_sgpr 7
		.amdhsa_accum_offset 12
		.amdhsa_reserve_vcc 1
		.amdhsa_reserve_flat_scratch 0
		.amdhsa_float_round_mode_32 0
		.amdhsa_float_round_mode_16_64 0
		.amdhsa_float_denorm_mode_32 3
		.amdhsa_float_denorm_mode_16_64 3
		.amdhsa_dx10_clamp 1
		.amdhsa_ieee_mode 1
		.amdhsa_fp16_overflow 0
		.amdhsa_tg_split 0
		.amdhsa_exception_fp_ieee_invalid_op 0
		.amdhsa_exception_fp_denorm_src 0
		.amdhsa_exception_fp_ieee_div_zero 0
		.amdhsa_exception_fp_ieee_overflow 0
		.amdhsa_exception_fp_ieee_underflow 0
		.amdhsa_exception_fp_ieee_inexact 0
		.amdhsa_exception_int_div_zero 0
	.end_amdhsa_kernel
	.section	.text._Z6kernelI23warp_striped_to_blockedN15benchmark_utils11custom_typeIffEELj256ELj2ELj100EEvPKT0_PKjPS4_,"axG",@progbits,_Z6kernelI23warp_striped_to_blockedN15benchmark_utils11custom_typeIffEELj256ELj2ELj100EEvPKT0_PKjPS4_,comdat
.Lfunc_end109:
	.size	_Z6kernelI23warp_striped_to_blockedN15benchmark_utils11custom_typeIffEELj256ELj2ELj100EEvPKT0_PKjPS4_, .Lfunc_end109-_Z6kernelI23warp_striped_to_blockedN15benchmark_utils11custom_typeIffEELj256ELj2ELj100EEvPKT0_PKjPS4_
                                        ; -- End function
	.section	.AMDGPU.csdata,"",@progbits
; Kernel info:
; codeLenInByte = 272
; NumSgprs: 11
; NumVgprs: 10
; NumAgprs: 0
; TotalNumVgprs: 10
; ScratchSize: 0
; MemoryBound: 0
; FloatMode: 240
; IeeeMode: 1
; LDSByteSize: 4224 bytes/workgroup (compile time only)
; SGPRBlocks: 1
; VGPRBlocks: 1
; NumSGPRsForWavesPerEU: 11
; NumVGPRsForWavesPerEU: 10
; AccumOffset: 12
; Occupancy: 8
; WaveLimiterHint : 1
; COMPUTE_PGM_RSRC2:SCRATCH_EN: 0
; COMPUTE_PGM_RSRC2:USER_SGPR: 6
; COMPUTE_PGM_RSRC2:TRAP_HANDLER: 0
; COMPUTE_PGM_RSRC2:TGID_X_EN: 1
; COMPUTE_PGM_RSRC2:TGID_Y_EN: 0
; COMPUTE_PGM_RSRC2:TGID_Z_EN: 0
; COMPUTE_PGM_RSRC2:TIDIG_COMP_CNT: 0
; COMPUTE_PGM_RSRC3_GFX90A:ACCUM_OFFSET: 2
; COMPUTE_PGM_RSRC3_GFX90A:TG_SPLIT: 0
	.section	.text._Z6kernelI23warp_striped_to_blockedN15benchmark_utils11custom_typeIffEELj256ELj3ELj100EEvPKT0_PKjPS4_,"axG",@progbits,_Z6kernelI23warp_striped_to_blockedN15benchmark_utils11custom_typeIffEELj256ELj3ELj100EEvPKT0_PKjPS4_,comdat
	.protected	_Z6kernelI23warp_striped_to_blockedN15benchmark_utils11custom_typeIffEELj256ELj3ELj100EEvPKT0_PKjPS4_ ; -- Begin function _Z6kernelI23warp_striped_to_blockedN15benchmark_utils11custom_typeIffEELj256ELj3ELj100EEvPKT0_PKjPS4_
	.globl	_Z6kernelI23warp_striped_to_blockedN15benchmark_utils11custom_typeIffEELj256ELj3ELj100EEvPKT0_PKjPS4_
	.p2align	8
	.type	_Z6kernelI23warp_striped_to_blockedN15benchmark_utils11custom_typeIffEELj256ELj3ELj100EEvPKT0_PKjPS4_,@function
_Z6kernelI23warp_striped_to_blockedN15benchmark_utils11custom_typeIffEELj256ELj3ELj100EEvPKT0_PKjPS4_: ; @_Z6kernelI23warp_striped_to_blockedN15benchmark_utils11custom_typeIffEELj256ELj3ELj100EEvPKT0_PKjPS4_
; %bb.0:
	s_load_dwordx2 s[2:3], s[4:5], 0x0
	s_mul_i32 s0, s6, 0x300
	s_mov_b32 s1, 0
	s_lshl_b64 s[0:1], s[0:1], 3
	v_mbcnt_lo_u32_b32 v1, -1, 0
	s_waitcnt lgkmcnt(0)
	s_add_u32 s2, s2, s0
	v_mbcnt_hi_u32_b32 v10, -1, v1
	s_addc_u32 s3, s3, s1
	v_and_b32_e32 v1, 0xc0, v0
	v_lshlrev_b32_e32 v11, 3, v10
	v_mul_u32_u24_e32 v1, 3, v1
	v_mov_b32_e32 v2, s3
	v_add_co_u32_e32 v3, vcc, s2, v11
	v_addc_co_u32_e32 v2, vcc, 0, v2, vcc
	v_lshlrev_b32_e32 v1, 3, v1
	v_add_co_u32_e32 v8, vcc, v3, v1
	v_addc_co_u32_e32 v9, vcc, 0, v2, vcc
	global_load_dwordx2 v[2:3], v[8:9], off
	global_load_dwordx2 v[4:5], v[8:9], off offset:512
	global_load_dwordx2 v[6:7], v[8:9], off offset:1024
	v_lshrrev_b32_e32 v1, 6, v0
	v_mul_u32_u24_e32 v8, 0xc0, v1
	v_mul_u32_u24_e32 v9, 3, v10
	v_lshl_add_u32 v1, v8, 3, v11
	v_add_lshl_u32 v8, v9, v8, 3
	s_movk_i32 s2, 0x64
.LBB110_1:                              ; =>This Inner Loop Header: Depth=1
	s_waitcnt vmcnt(1)
	ds_write2st64_b64 v1, v[2:3], v[4:5] offset1:1
	s_waitcnt vmcnt(0)
	ds_write_b64 v1, v[6:7] offset:1024
	; wave barrier
	ds_read2_b64 v[2:5], v8 offset1:1
	ds_read_b64 v[6:7], v8 offset:16
	s_add_i32 s2, s2, -1
	s_cmp_lg_u32 s2, 0
	s_waitcnt lgkmcnt(0)
	s_barrier
	s_cbranch_scc1 .LBB110_1
; %bb.2:
	s_load_dwordx2 s[2:3], s[4:5], 0x10
	v_mul_u32_u24_e32 v0, 3, v0
	v_lshlrev_b32_e32 v0, 3, v0
	s_waitcnt lgkmcnt(0)
	s_add_u32 s0, s2, s0
	s_addc_u32 s1, s3, s1
	global_store_dwordx4 v0, v[2:5], s[0:1]
	global_store_dwordx2 v0, v[6:7], s[0:1] offset:16
	s_endpgm
	.section	.rodata,"a",@progbits
	.p2align	6, 0x0
	.amdhsa_kernel _Z6kernelI23warp_striped_to_blockedN15benchmark_utils11custom_typeIffEELj256ELj3ELj100EEvPKT0_PKjPS4_
		.amdhsa_group_segment_fixed_size 6144
		.amdhsa_private_segment_fixed_size 0
		.amdhsa_kernarg_size 24
		.amdhsa_user_sgpr_count 6
		.amdhsa_user_sgpr_private_segment_buffer 1
		.amdhsa_user_sgpr_dispatch_ptr 0
		.amdhsa_user_sgpr_queue_ptr 0
		.amdhsa_user_sgpr_kernarg_segment_ptr 1
		.amdhsa_user_sgpr_dispatch_id 0
		.amdhsa_user_sgpr_flat_scratch_init 0
		.amdhsa_user_sgpr_kernarg_preload_length 0
		.amdhsa_user_sgpr_kernarg_preload_offset 0
		.amdhsa_user_sgpr_private_segment_size 0
		.amdhsa_uses_dynamic_stack 0
		.amdhsa_system_sgpr_private_segment_wavefront_offset 0
		.amdhsa_system_sgpr_workgroup_id_x 1
		.amdhsa_system_sgpr_workgroup_id_y 0
		.amdhsa_system_sgpr_workgroup_id_z 0
		.amdhsa_system_sgpr_workgroup_info 0
		.amdhsa_system_vgpr_workitem_id 0
		.amdhsa_next_free_vgpr 12
		.amdhsa_next_free_sgpr 7
		.amdhsa_accum_offset 12
		.amdhsa_reserve_vcc 1
		.amdhsa_reserve_flat_scratch 0
		.amdhsa_float_round_mode_32 0
		.amdhsa_float_round_mode_16_64 0
		.amdhsa_float_denorm_mode_32 3
		.amdhsa_float_denorm_mode_16_64 3
		.amdhsa_dx10_clamp 1
		.amdhsa_ieee_mode 1
		.amdhsa_fp16_overflow 0
		.amdhsa_tg_split 0
		.amdhsa_exception_fp_ieee_invalid_op 0
		.amdhsa_exception_fp_denorm_src 0
		.amdhsa_exception_fp_ieee_div_zero 0
		.amdhsa_exception_fp_ieee_overflow 0
		.amdhsa_exception_fp_ieee_underflow 0
		.amdhsa_exception_fp_ieee_inexact 0
		.amdhsa_exception_int_div_zero 0
	.end_amdhsa_kernel
	.section	.text._Z6kernelI23warp_striped_to_blockedN15benchmark_utils11custom_typeIffEELj256ELj3ELj100EEvPKT0_PKjPS4_,"axG",@progbits,_Z6kernelI23warp_striped_to_blockedN15benchmark_utils11custom_typeIffEELj256ELj3ELj100EEvPKT0_PKjPS4_,comdat
.Lfunc_end110:
	.size	_Z6kernelI23warp_striped_to_blockedN15benchmark_utils11custom_typeIffEELj256ELj3ELj100EEvPKT0_PKjPS4_, .Lfunc_end110-_Z6kernelI23warp_striped_to_blockedN15benchmark_utils11custom_typeIffEELj256ELj3ELj100EEvPKT0_PKjPS4_
                                        ; -- End function
	.section	.AMDGPU.csdata,"",@progbits
; Kernel info:
; codeLenInByte = 260
; NumSgprs: 11
; NumVgprs: 12
; NumAgprs: 0
; TotalNumVgprs: 12
; ScratchSize: 0
; MemoryBound: 0
; FloatMode: 240
; IeeeMode: 1
; LDSByteSize: 6144 bytes/workgroup (compile time only)
; SGPRBlocks: 1
; VGPRBlocks: 1
; NumSGPRsForWavesPerEU: 11
; NumVGPRsForWavesPerEU: 12
; AccumOffset: 12
; Occupancy: 8
; WaveLimiterHint : 1
; COMPUTE_PGM_RSRC2:SCRATCH_EN: 0
; COMPUTE_PGM_RSRC2:USER_SGPR: 6
; COMPUTE_PGM_RSRC2:TRAP_HANDLER: 0
; COMPUTE_PGM_RSRC2:TGID_X_EN: 1
; COMPUTE_PGM_RSRC2:TGID_Y_EN: 0
; COMPUTE_PGM_RSRC2:TGID_Z_EN: 0
; COMPUTE_PGM_RSRC2:TIDIG_COMP_CNT: 0
; COMPUTE_PGM_RSRC3_GFX90A:ACCUM_OFFSET: 2
; COMPUTE_PGM_RSRC3_GFX90A:TG_SPLIT: 0
	.section	.text._Z6kernelI23warp_striped_to_blockedN15benchmark_utils11custom_typeIffEELj256ELj4ELj100EEvPKT0_PKjPS4_,"axG",@progbits,_Z6kernelI23warp_striped_to_blockedN15benchmark_utils11custom_typeIffEELj256ELj4ELj100EEvPKT0_PKjPS4_,comdat
	.protected	_Z6kernelI23warp_striped_to_blockedN15benchmark_utils11custom_typeIffEELj256ELj4ELj100EEvPKT0_PKjPS4_ ; -- Begin function _Z6kernelI23warp_striped_to_blockedN15benchmark_utils11custom_typeIffEELj256ELj4ELj100EEvPKT0_PKjPS4_
	.globl	_Z6kernelI23warp_striped_to_blockedN15benchmark_utils11custom_typeIffEELj256ELj4ELj100EEvPKT0_PKjPS4_
	.p2align	8
	.type	_Z6kernelI23warp_striped_to_blockedN15benchmark_utils11custom_typeIffEELj256ELj4ELj100EEvPKT0_PKjPS4_,@function
_Z6kernelI23warp_striped_to_blockedN15benchmark_utils11custom_typeIffEELj256ELj4ELj100EEvPKT0_PKjPS4_: ; @_Z6kernelI23warp_striped_to_blockedN15benchmark_utils11custom_typeIffEELj256ELj4ELj100EEvPKT0_PKjPS4_
; %bb.0:
	s_load_dwordx2 s[2:3], s[4:5], 0x0
	s_lshl_b32 s0, s6, 10
	s_mov_b32 s1, 0
	s_lshl_b64 s[0:1], s[0:1], 3
	v_mbcnt_lo_u32_b32 v1, -1, 0
	s_waitcnt lgkmcnt(0)
	s_add_u32 s2, s2, s0
	v_mbcnt_hi_u32_b32 v14, -1, v1
	s_addc_u32 s3, s3, s1
	v_lshlrev_b32_e32 v1, 2, v0
	v_lshlrev_b32_e32 v2, 3, v14
	v_and_b32_e32 v12, 0x300, v1
	v_mov_b32_e32 v3, s3
	v_add_co_u32_e32 v2, vcc, s2, v2
	v_addc_co_u32_e32 v3, vcc, 0, v3, vcc
	v_lshlrev_b32_e32 v4, 3, v12
	v_add_co_u32_e32 v10, vcc, v2, v4
	v_addc_co_u32_e32 v11, vcc, 0, v3, vcc
	global_load_dwordx2 v[2:3], v[10:11], off
	global_load_dwordx2 v[4:5], v[10:11], off offset:512
	global_load_dwordx2 v[6:7], v[10:11], off offset:1024
	;; [unrolled: 1-line block ×3, first 2 shown]
	v_or_b32_e32 v13, v14, v12
	v_lshrrev_b32_e32 v10, 2, v13
	v_lshlrev_b32_e32 v15, 3, v13
	v_add_u32_e32 v11, 64, v13
	v_or_b32_e32 v12, 0x80, v13
	v_add_u32_e32 v13, 0xc0, v13
	v_and_b32_e32 v0, 0xc0, v0
	v_lshrrev_b32_e32 v11, 2, v11
	v_lshrrev_b32_e32 v12, 2, v12
	;; [unrolled: 1-line block ×3, first 2 shown]
	v_add_u32_e32 v0, v14, v0
	v_and_b32_e32 v10, 0xd8, v10
	v_and_b32_e32 v11, 0xf8, v11
	;; [unrolled: 1-line block ×4, first 2 shown]
	v_lshlrev_b32_e32 v14, 2, v0
	v_bfe_u32 v0, v0, 3, 27
	v_add_u32_e32 v10, v10, v15
	v_add_u32_e32 v11, v11, v15
	;; [unrolled: 1-line block ×4, first 2 shown]
	v_add_lshl_u32 v0, v0, v14, 3
	s_movk_i32 s2, 0x64
.LBB111_1:                              ; =>This Inner Loop Header: Depth=1
	s_waitcnt vmcnt(3)
	ds_write_b64 v10, v[2:3]
	s_waitcnt vmcnt(2)
	ds_write_b64 v11, v[4:5] offset:512
	s_waitcnt vmcnt(1)
	ds_write_b64 v12, v[6:7] offset:1024
	;; [unrolled: 2-line block ×3, first 2 shown]
	; wave barrier
	ds_read2_b64 v[2:5], v0 offset1:1
	ds_read2_b64 v[6:9], v0 offset0:2 offset1:3
	s_add_i32 s2, s2, -1
	s_cmp_lg_u32 s2, 0
	s_waitcnt lgkmcnt(0)
	s_barrier
	s_cbranch_scc1 .LBB111_1
; %bb.2:
	s_load_dwordx2 s[2:3], s[4:5], 0x10
	v_lshlrev_b32_e32 v0, 3, v1
	s_waitcnt lgkmcnt(0)
	s_add_u32 s0, s2, s0
	s_addc_u32 s1, s3, s1
	global_store_dwordx4 v0, v[2:5], s[0:1]
	global_store_dwordx4 v0, v[6:9], s[0:1] offset:16
	s_endpgm
	.section	.rodata,"a",@progbits
	.p2align	6, 0x0
	.amdhsa_kernel _Z6kernelI23warp_striped_to_blockedN15benchmark_utils11custom_typeIffEELj256ELj4ELj100EEvPKT0_PKjPS4_
		.amdhsa_group_segment_fixed_size 8448
		.amdhsa_private_segment_fixed_size 0
		.amdhsa_kernarg_size 24
		.amdhsa_user_sgpr_count 6
		.amdhsa_user_sgpr_private_segment_buffer 1
		.amdhsa_user_sgpr_dispatch_ptr 0
		.amdhsa_user_sgpr_queue_ptr 0
		.amdhsa_user_sgpr_kernarg_segment_ptr 1
		.amdhsa_user_sgpr_dispatch_id 0
		.amdhsa_user_sgpr_flat_scratch_init 0
		.amdhsa_user_sgpr_kernarg_preload_length 0
		.amdhsa_user_sgpr_kernarg_preload_offset 0
		.amdhsa_user_sgpr_private_segment_size 0
		.amdhsa_uses_dynamic_stack 0
		.amdhsa_system_sgpr_private_segment_wavefront_offset 0
		.amdhsa_system_sgpr_workgroup_id_x 1
		.amdhsa_system_sgpr_workgroup_id_y 0
		.amdhsa_system_sgpr_workgroup_id_z 0
		.amdhsa_system_sgpr_workgroup_info 0
		.amdhsa_system_vgpr_workitem_id 0
		.amdhsa_next_free_vgpr 16
		.amdhsa_next_free_sgpr 7
		.amdhsa_accum_offset 16
		.amdhsa_reserve_vcc 1
		.amdhsa_reserve_flat_scratch 0
		.amdhsa_float_round_mode_32 0
		.amdhsa_float_round_mode_16_64 0
		.amdhsa_float_denorm_mode_32 3
		.amdhsa_float_denorm_mode_16_64 3
		.amdhsa_dx10_clamp 1
		.amdhsa_ieee_mode 1
		.amdhsa_fp16_overflow 0
		.amdhsa_tg_split 0
		.amdhsa_exception_fp_ieee_invalid_op 0
		.amdhsa_exception_fp_denorm_src 0
		.amdhsa_exception_fp_ieee_div_zero 0
		.amdhsa_exception_fp_ieee_overflow 0
		.amdhsa_exception_fp_ieee_underflow 0
		.amdhsa_exception_fp_ieee_inexact 0
		.amdhsa_exception_int_div_zero 0
	.end_amdhsa_kernel
	.section	.text._Z6kernelI23warp_striped_to_blockedN15benchmark_utils11custom_typeIffEELj256ELj4ELj100EEvPKT0_PKjPS4_,"axG",@progbits,_Z6kernelI23warp_striped_to_blockedN15benchmark_utils11custom_typeIffEELj256ELj4ELj100EEvPKT0_PKjPS4_,comdat
.Lfunc_end111:
	.size	_Z6kernelI23warp_striped_to_blockedN15benchmark_utils11custom_typeIffEELj256ELj4ELj100EEvPKT0_PKjPS4_, .Lfunc_end111-_Z6kernelI23warp_striped_to_blockedN15benchmark_utils11custom_typeIffEELj256ELj4ELj100EEvPKT0_PKjPS4_
                                        ; -- End function
	.section	.AMDGPU.csdata,"",@progbits
; Kernel info:
; codeLenInByte = 376
; NumSgprs: 11
; NumVgprs: 16
; NumAgprs: 0
; TotalNumVgprs: 16
; ScratchSize: 0
; MemoryBound: 0
; FloatMode: 240
; IeeeMode: 1
; LDSByteSize: 8448 bytes/workgroup (compile time only)
; SGPRBlocks: 1
; VGPRBlocks: 1
; NumSGPRsForWavesPerEU: 11
; NumVGPRsForWavesPerEU: 16
; AccumOffset: 16
; Occupancy: 7
; WaveLimiterHint : 1
; COMPUTE_PGM_RSRC2:SCRATCH_EN: 0
; COMPUTE_PGM_RSRC2:USER_SGPR: 6
; COMPUTE_PGM_RSRC2:TRAP_HANDLER: 0
; COMPUTE_PGM_RSRC2:TGID_X_EN: 1
; COMPUTE_PGM_RSRC2:TGID_Y_EN: 0
; COMPUTE_PGM_RSRC2:TGID_Z_EN: 0
; COMPUTE_PGM_RSRC2:TIDIG_COMP_CNT: 0
; COMPUTE_PGM_RSRC3_GFX90A:ACCUM_OFFSET: 3
; COMPUTE_PGM_RSRC3_GFX90A:TG_SPLIT: 0
	.section	.text._Z6kernelI23warp_striped_to_blockedN15benchmark_utils11custom_typeIffEELj256ELj7ELj100EEvPKT0_PKjPS4_,"axG",@progbits,_Z6kernelI23warp_striped_to_blockedN15benchmark_utils11custom_typeIffEELj256ELj7ELj100EEvPKT0_PKjPS4_,comdat
	.protected	_Z6kernelI23warp_striped_to_blockedN15benchmark_utils11custom_typeIffEELj256ELj7ELj100EEvPKT0_PKjPS4_ ; -- Begin function _Z6kernelI23warp_striped_to_blockedN15benchmark_utils11custom_typeIffEELj256ELj7ELj100EEvPKT0_PKjPS4_
	.globl	_Z6kernelI23warp_striped_to_blockedN15benchmark_utils11custom_typeIffEELj256ELj7ELj100EEvPKT0_PKjPS4_
	.p2align	8
	.type	_Z6kernelI23warp_striped_to_blockedN15benchmark_utils11custom_typeIffEELj256ELj7ELj100EEvPKT0_PKjPS4_,@function
_Z6kernelI23warp_striped_to_blockedN15benchmark_utils11custom_typeIffEELj256ELj7ELj100EEvPKT0_PKjPS4_: ; @_Z6kernelI23warp_striped_to_blockedN15benchmark_utils11custom_typeIffEELj256ELj7ELj100EEvPKT0_PKjPS4_
; %bb.0:
	s_load_dwordx2 s[2:3], s[4:5], 0x0
	s_mul_i32 s0, s6, 0x700
	s_mov_b32 s1, 0
	s_lshl_b64 s[0:1], s[0:1], 3
	v_mbcnt_lo_u32_b32 v1, -1, 0
	s_waitcnt lgkmcnt(0)
	s_add_u32 s2, s2, s0
	v_mbcnt_hi_u32_b32 v18, -1, v1
	s_addc_u32 s3, s3, s1
	v_and_b32_e32 v1, 0xc0, v0
	v_lshlrev_b32_e32 v19, 3, v18
	v_mul_u32_u24_e32 v1, 7, v1
	v_mov_b32_e32 v2, s3
	v_add_co_u32_e32 v3, vcc, s2, v19
	v_addc_co_u32_e32 v2, vcc, 0, v2, vcc
	v_lshlrev_b32_e32 v1, 3, v1
	v_add_co_u32_e32 v16, vcc, v3, v1
	v_addc_co_u32_e32 v17, vcc, 0, v2, vcc
	global_load_dwordx2 v[2:3], v[16:17], off
	global_load_dwordx2 v[4:5], v[16:17], off offset:512
	global_load_dwordx2 v[6:7], v[16:17], off offset:1024
	;; [unrolled: 1-line block ×6, first 2 shown]
	v_lshrrev_b32_e32 v1, 6, v0
	v_mul_u32_u24_e32 v16, 0x1c0, v1
	v_mul_u32_u24_e32 v17, 7, v18
	v_lshl_add_u32 v1, v16, 3, v19
	v_add_lshl_u32 v16, v17, v16, 3
	s_movk_i32 s2, 0x64
.LBB112_1:                              ; =>This Inner Loop Header: Depth=1
	s_waitcnt vmcnt(5)
	ds_write2st64_b64 v1, v[2:3], v[4:5] offset1:1
	s_waitcnt vmcnt(3)
	ds_write2st64_b64 v1, v[6:7], v[8:9] offset0:2 offset1:3
	s_waitcnt vmcnt(1)
	ds_write2st64_b64 v1, v[10:11], v[12:13] offset0:4 offset1:5
	s_waitcnt vmcnt(0)
	ds_write_b64 v1, v[14:15] offset:3072
	; wave barrier
	ds_read2_b64 v[2:5], v16 offset1:1
	ds_read2_b64 v[6:9], v16 offset0:2 offset1:3
	ds_read2_b64 v[10:13], v16 offset0:4 offset1:5
	ds_read_b64 v[14:15], v16 offset:48
	s_add_i32 s2, s2, -1
	s_cmp_lg_u32 s2, 0
	s_waitcnt lgkmcnt(0)
	s_barrier
	s_cbranch_scc1 .LBB112_1
; %bb.2:
	s_load_dwordx2 s[2:3], s[4:5], 0x10
	v_mul_u32_u24_e32 v0, 7, v0
	v_lshlrev_b32_e32 v0, 3, v0
	s_waitcnt lgkmcnt(0)
	s_add_u32 s0, s2, s0
	s_addc_u32 s1, s3, s1
	global_store_dwordx4 v0, v[2:5], s[0:1]
	global_store_dwordx4 v0, v[6:9], s[0:1] offset:16
	global_store_dwordx4 v0, v[10:13], s[0:1] offset:32
	global_store_dwordx2 v0, v[14:15], s[0:1] offset:48
	s_endpgm
	.section	.rodata,"a",@progbits
	.p2align	6, 0x0
	.amdhsa_kernel _Z6kernelI23warp_striped_to_blockedN15benchmark_utils11custom_typeIffEELj256ELj7ELj100EEvPKT0_PKjPS4_
		.amdhsa_group_segment_fixed_size 14336
		.amdhsa_private_segment_fixed_size 0
		.amdhsa_kernarg_size 24
		.amdhsa_user_sgpr_count 6
		.amdhsa_user_sgpr_private_segment_buffer 1
		.amdhsa_user_sgpr_dispatch_ptr 0
		.amdhsa_user_sgpr_queue_ptr 0
		.amdhsa_user_sgpr_kernarg_segment_ptr 1
		.amdhsa_user_sgpr_dispatch_id 0
		.amdhsa_user_sgpr_flat_scratch_init 0
		.amdhsa_user_sgpr_kernarg_preload_length 0
		.amdhsa_user_sgpr_kernarg_preload_offset 0
		.amdhsa_user_sgpr_private_segment_size 0
		.amdhsa_uses_dynamic_stack 0
		.amdhsa_system_sgpr_private_segment_wavefront_offset 0
		.amdhsa_system_sgpr_workgroup_id_x 1
		.amdhsa_system_sgpr_workgroup_id_y 0
		.amdhsa_system_sgpr_workgroup_id_z 0
		.amdhsa_system_sgpr_workgroup_info 0
		.amdhsa_system_vgpr_workitem_id 0
		.amdhsa_next_free_vgpr 20
		.amdhsa_next_free_sgpr 7
		.amdhsa_accum_offset 20
		.amdhsa_reserve_vcc 1
		.amdhsa_reserve_flat_scratch 0
		.amdhsa_float_round_mode_32 0
		.amdhsa_float_round_mode_16_64 0
		.amdhsa_float_denorm_mode_32 3
		.amdhsa_float_denorm_mode_16_64 3
		.amdhsa_dx10_clamp 1
		.amdhsa_ieee_mode 1
		.amdhsa_fp16_overflow 0
		.amdhsa_tg_split 0
		.amdhsa_exception_fp_ieee_invalid_op 0
		.amdhsa_exception_fp_denorm_src 0
		.amdhsa_exception_fp_ieee_div_zero 0
		.amdhsa_exception_fp_ieee_overflow 0
		.amdhsa_exception_fp_ieee_underflow 0
		.amdhsa_exception_fp_ieee_inexact 0
		.amdhsa_exception_int_div_zero 0
	.end_amdhsa_kernel
	.section	.text._Z6kernelI23warp_striped_to_blockedN15benchmark_utils11custom_typeIffEELj256ELj7ELj100EEvPKT0_PKjPS4_,"axG",@progbits,_Z6kernelI23warp_striped_to_blockedN15benchmark_utils11custom_typeIffEELj256ELj7ELj100EEvPKT0_PKjPS4_,comdat
.Lfunc_end112:
	.size	_Z6kernelI23warp_striped_to_blockedN15benchmark_utils11custom_typeIffEELj256ELj7ELj100EEvPKT0_PKjPS4_, .Lfunc_end112-_Z6kernelI23warp_striped_to_blockedN15benchmark_utils11custom_typeIffEELj256ELj7ELj100EEvPKT0_PKjPS4_
                                        ; -- End function
	.section	.AMDGPU.csdata,"",@progbits
; Kernel info:
; codeLenInByte = 348
; NumSgprs: 11
; NumVgprs: 20
; NumAgprs: 0
; TotalNumVgprs: 20
; ScratchSize: 0
; MemoryBound: 0
; FloatMode: 240
; IeeeMode: 1
; LDSByteSize: 14336 bytes/workgroup (compile time only)
; SGPRBlocks: 1
; VGPRBlocks: 2
; NumSGPRsForWavesPerEU: 11
; NumVGPRsForWavesPerEU: 20
; AccumOffset: 20
; Occupancy: 4
; WaveLimiterHint : 1
; COMPUTE_PGM_RSRC2:SCRATCH_EN: 0
; COMPUTE_PGM_RSRC2:USER_SGPR: 6
; COMPUTE_PGM_RSRC2:TRAP_HANDLER: 0
; COMPUTE_PGM_RSRC2:TGID_X_EN: 1
; COMPUTE_PGM_RSRC2:TGID_Y_EN: 0
; COMPUTE_PGM_RSRC2:TGID_Z_EN: 0
; COMPUTE_PGM_RSRC2:TIDIG_COMP_CNT: 0
; COMPUTE_PGM_RSRC3_GFX90A:ACCUM_OFFSET: 4
; COMPUTE_PGM_RSRC3_GFX90A:TG_SPLIT: 0
	.section	.text._Z6kernelI23warp_striped_to_blockedN15benchmark_utils11custom_typeIffEELj256ELj8ELj100EEvPKT0_PKjPS4_,"axG",@progbits,_Z6kernelI23warp_striped_to_blockedN15benchmark_utils11custom_typeIffEELj256ELj8ELj100EEvPKT0_PKjPS4_,comdat
	.protected	_Z6kernelI23warp_striped_to_blockedN15benchmark_utils11custom_typeIffEELj256ELj8ELj100EEvPKT0_PKjPS4_ ; -- Begin function _Z6kernelI23warp_striped_to_blockedN15benchmark_utils11custom_typeIffEELj256ELj8ELj100EEvPKT0_PKjPS4_
	.globl	_Z6kernelI23warp_striped_to_blockedN15benchmark_utils11custom_typeIffEELj256ELj8ELj100EEvPKT0_PKjPS4_
	.p2align	8
	.type	_Z6kernelI23warp_striped_to_blockedN15benchmark_utils11custom_typeIffEELj256ELj8ELj100EEvPKT0_PKjPS4_,@function
_Z6kernelI23warp_striped_to_blockedN15benchmark_utils11custom_typeIffEELj256ELj8ELj100EEvPKT0_PKjPS4_: ; @_Z6kernelI23warp_striped_to_blockedN15benchmark_utils11custom_typeIffEELj256ELj8ELj100EEvPKT0_PKjPS4_
; %bb.0:
	s_load_dwordx2 s[2:3], s[4:5], 0x0
	s_lshl_b32 s0, s6, 11
	s_mov_b32 s1, 0
	s_lshl_b64 s[0:1], s[0:1], 3
	v_mbcnt_lo_u32_b32 v1, -1, 0
	s_waitcnt lgkmcnt(0)
	s_add_u32 s2, s2, s0
	v_mbcnt_hi_u32_b32 v26, -1, v1
	s_addc_u32 s3, s3, s1
	v_lshlrev_b32_e32 v1, 3, v0
	v_lshlrev_b32_e32 v2, 3, v26
	v_and_b32_e32 v20, 0x600, v1
	v_mov_b32_e32 v3, s3
	v_add_co_u32_e32 v2, vcc, s2, v2
	v_addc_co_u32_e32 v3, vcc, 0, v3, vcc
	v_lshlrev_b32_e32 v4, 3, v20
	v_add_co_u32_e32 v18, vcc, v2, v4
	v_addc_co_u32_e32 v19, vcc, 0, v3, vcc
	global_load_dwordx2 v[2:3], v[18:19], off
	global_load_dwordx2 v[4:5], v[18:19], off offset:512
	global_load_dwordx2 v[6:7], v[18:19], off offset:1024
	;; [unrolled: 1-line block ×7, first 2 shown]
	v_or_b32_e32 v25, v26, v20
	v_lshrrev_b32_e32 v18, 2, v25
	v_lshlrev_b32_e32 v27, 3, v25
	v_add_u32_e32 v19, 64, v25
	v_or_b32_e32 v20, 0x80, v25
	v_add_u32_e32 v21, 0xc0, v25
	v_or_b32_e32 v22, 0x100, v25
	;; [unrolled: 2-line block ×3, first 2 shown]
	v_add_u32_e32 v25, 0x1c0, v25
	v_and_b32_e32 v0, 0xc0, v0
	v_lshrrev_b32_e32 v19, 2, v19
	v_lshrrev_b32_e32 v20, 2, v20
	;; [unrolled: 1-line block ×7, first 2 shown]
	v_add_u32_e32 v0, v26, v0
	v_and_b32_e32 v18, 0x198, v18
	v_and_b32_e32 v19, 0x1b8, v19
	;; [unrolled: 1-line block ×8, first 2 shown]
	v_lshlrev_b32_e32 v26, 3, v0
	v_bfe_u32 v0, v0, 2, 27
	v_add_u32_e32 v18, v18, v27
	v_add_u32_e32 v19, v19, v27
	;; [unrolled: 1-line block ×8, first 2 shown]
	v_add_lshl_u32 v0, v0, v26, 3
	s_movk_i32 s2, 0x64
.LBB113_1:                              ; =>This Inner Loop Header: Depth=1
	s_waitcnt vmcnt(7)
	ds_write_b64 v18, v[2:3]
	s_waitcnt vmcnt(6)
	ds_write_b64 v19, v[4:5] offset:512
	s_waitcnt vmcnt(5)
	ds_write_b64 v20, v[6:7] offset:1024
	;; [unrolled: 2-line block ×7, first 2 shown]
	; wave barrier
	ds_read2_b64 v[2:5], v0 offset1:1
	ds_read2_b64 v[6:9], v0 offset0:2 offset1:3
	ds_read2_b64 v[10:13], v0 offset0:4 offset1:5
	;; [unrolled: 1-line block ×3, first 2 shown]
	s_add_i32 s2, s2, -1
	s_cmp_lg_u32 s2, 0
	s_waitcnt lgkmcnt(0)
	s_barrier
	s_cbranch_scc1 .LBB113_1
; %bb.2:
	s_load_dwordx2 s[2:3], s[4:5], 0x10
	v_lshlrev_b32_e32 v0, 3, v1
	s_waitcnt lgkmcnt(0)
	s_add_u32 s0, s2, s0
	s_addc_u32 s1, s3, s1
	global_store_dwordx4 v0, v[2:5], s[0:1]
	global_store_dwordx4 v0, v[6:9], s[0:1] offset:16
	global_store_dwordx4 v0, v[10:13], s[0:1] offset:32
	;; [unrolled: 1-line block ×3, first 2 shown]
	s_endpgm
	.section	.rodata,"a",@progbits
	.p2align	6, 0x0
	.amdhsa_kernel _Z6kernelI23warp_striped_to_blockedN15benchmark_utils11custom_typeIffEELj256ELj8ELj100EEvPKT0_PKjPS4_
		.amdhsa_group_segment_fixed_size 16896
		.amdhsa_private_segment_fixed_size 0
		.amdhsa_kernarg_size 24
		.amdhsa_user_sgpr_count 6
		.amdhsa_user_sgpr_private_segment_buffer 1
		.amdhsa_user_sgpr_dispatch_ptr 0
		.amdhsa_user_sgpr_queue_ptr 0
		.amdhsa_user_sgpr_kernarg_segment_ptr 1
		.amdhsa_user_sgpr_dispatch_id 0
		.amdhsa_user_sgpr_flat_scratch_init 0
		.amdhsa_user_sgpr_kernarg_preload_length 0
		.amdhsa_user_sgpr_kernarg_preload_offset 0
		.amdhsa_user_sgpr_private_segment_size 0
		.amdhsa_uses_dynamic_stack 0
		.amdhsa_system_sgpr_private_segment_wavefront_offset 0
		.amdhsa_system_sgpr_workgroup_id_x 1
		.amdhsa_system_sgpr_workgroup_id_y 0
		.amdhsa_system_sgpr_workgroup_id_z 0
		.amdhsa_system_sgpr_workgroup_info 0
		.amdhsa_system_vgpr_workitem_id 0
		.amdhsa_next_free_vgpr 28
		.amdhsa_next_free_sgpr 7
		.amdhsa_accum_offset 28
		.amdhsa_reserve_vcc 1
		.amdhsa_reserve_flat_scratch 0
		.amdhsa_float_round_mode_32 0
		.amdhsa_float_round_mode_16_64 0
		.amdhsa_float_denorm_mode_32 3
		.amdhsa_float_denorm_mode_16_64 3
		.amdhsa_dx10_clamp 1
		.amdhsa_ieee_mode 1
		.amdhsa_fp16_overflow 0
		.amdhsa_tg_split 0
		.amdhsa_exception_fp_ieee_invalid_op 0
		.amdhsa_exception_fp_denorm_src 0
		.amdhsa_exception_fp_ieee_div_zero 0
		.amdhsa_exception_fp_ieee_overflow 0
		.amdhsa_exception_fp_ieee_underflow 0
		.amdhsa_exception_fp_ieee_inexact 0
		.amdhsa_exception_int_div_zero 0
	.end_amdhsa_kernel
	.section	.text._Z6kernelI23warp_striped_to_blockedN15benchmark_utils11custom_typeIffEELj256ELj8ELj100EEvPKT0_PKjPS4_,"axG",@progbits,_Z6kernelI23warp_striped_to_blockedN15benchmark_utils11custom_typeIffEELj256ELj8ELj100EEvPKT0_PKjPS4_,comdat
.Lfunc_end113:
	.size	_Z6kernelI23warp_striped_to_blockedN15benchmark_utils11custom_typeIffEELj256ELj8ELj100EEvPKT0_PKjPS4_, .Lfunc_end113-_Z6kernelI23warp_striped_to_blockedN15benchmark_utils11custom_typeIffEELj256ELj8ELj100EEvPKT0_PKjPS4_
                                        ; -- End function
	.section	.AMDGPU.csdata,"",@progbits
; Kernel info:
; codeLenInByte = 584
; NumSgprs: 11
; NumVgprs: 28
; NumAgprs: 0
; TotalNumVgprs: 28
; ScratchSize: 0
; MemoryBound: 0
; FloatMode: 240
; IeeeMode: 1
; LDSByteSize: 16896 bytes/workgroup (compile time only)
; SGPRBlocks: 1
; VGPRBlocks: 3
; NumSGPRsForWavesPerEU: 11
; NumVGPRsForWavesPerEU: 28
; AccumOffset: 28
; Occupancy: 3
; WaveLimiterHint : 1
; COMPUTE_PGM_RSRC2:SCRATCH_EN: 0
; COMPUTE_PGM_RSRC2:USER_SGPR: 6
; COMPUTE_PGM_RSRC2:TRAP_HANDLER: 0
; COMPUTE_PGM_RSRC2:TGID_X_EN: 1
; COMPUTE_PGM_RSRC2:TGID_Y_EN: 0
; COMPUTE_PGM_RSRC2:TGID_Z_EN: 0
; COMPUTE_PGM_RSRC2:TIDIG_COMP_CNT: 0
; COMPUTE_PGM_RSRC3_GFX90A:ACCUM_OFFSET: 6
; COMPUTE_PGM_RSRC3_GFX90A:TG_SPLIT: 0
	.section	.text._Z6kernelI23warp_striped_to_blockedN15benchmark_utils11custom_typeIddEELj256ELj1ELj100EEvPKT0_PKjPS4_,"axG",@progbits,_Z6kernelI23warp_striped_to_blockedN15benchmark_utils11custom_typeIddEELj256ELj1ELj100EEvPKT0_PKjPS4_,comdat
	.protected	_Z6kernelI23warp_striped_to_blockedN15benchmark_utils11custom_typeIddEELj256ELj1ELj100EEvPKT0_PKjPS4_ ; -- Begin function _Z6kernelI23warp_striped_to_blockedN15benchmark_utils11custom_typeIddEELj256ELj1ELj100EEvPKT0_PKjPS4_
	.globl	_Z6kernelI23warp_striped_to_blockedN15benchmark_utils11custom_typeIddEELj256ELj1ELj100EEvPKT0_PKjPS4_
	.p2align	8
	.type	_Z6kernelI23warp_striped_to_blockedN15benchmark_utils11custom_typeIddEELj256ELj1ELj100EEvPKT0_PKjPS4_,@function
_Z6kernelI23warp_striped_to_blockedN15benchmark_utils11custom_typeIddEELj256ELj1ELj100EEvPKT0_PKjPS4_: ; @_Z6kernelI23warp_striped_to_blockedN15benchmark_utils11custom_typeIddEELj256ELj1ELj100EEvPKT0_PKjPS4_
; %bb.0:
	s_load_dwordx2 s[2:3], s[4:5], 0x0
	s_lshl_b32 s0, s6, 8
	s_mov_b32 s1, 0
	s_lshl_b64 s[0:1], s[0:1], 4
	v_mbcnt_lo_u32_b32 v1, -1, 0
	s_waitcnt lgkmcnt(0)
	s_add_u32 s2, s2, s0
	v_mbcnt_hi_u32_b32 v1, -1, v1
	s_addc_u32 s3, s3, s1
	v_lshlrev_b32_e32 v1, 4, v1
	v_and_b32_e32 v2, 0xc0, v0
	v_mov_b32_e32 v3, s3
	v_add_co_u32_e32 v4, vcc, s2, v1
	v_addc_co_u32_e32 v3, vcc, 0, v3, vcc
	v_lshlrev_b32_e32 v6, 4, v2
	v_add_co_u32_e32 v2, vcc, v4, v6
	v_addc_co_u32_e32 v3, vcc, 0, v3, vcc
	global_load_dwordx4 v[2:5], v[2:3], off
	v_add_u32_e32 v1, v1, v6
	s_movk_i32 s2, 0x64
.LBB114_1:                              ; =>This Inner Loop Header: Depth=1
	s_waitcnt vmcnt(0)
	ds_write_b128 v1, v[2:5]
	; wave barrier
	ds_read_b128 v[2:5], v1
	s_add_i32 s2, s2, -1
	s_cmp_lg_u32 s2, 0
	s_waitcnt lgkmcnt(0)
	s_barrier
	s_cbranch_scc1 .LBB114_1
; %bb.2:
	s_load_dwordx2 s[2:3], s[4:5], 0x10
	v_lshlrev_b32_e32 v0, 4, v0
	s_waitcnt lgkmcnt(0)
	s_add_u32 s0, s2, s0
	s_addc_u32 s1, s3, s1
	global_store_dwordx4 v0, v[2:5], s[0:1]
	s_endpgm
	.section	.rodata,"a",@progbits
	.p2align	6, 0x0
	.amdhsa_kernel _Z6kernelI23warp_striped_to_blockedN15benchmark_utils11custom_typeIddEELj256ELj1ELj100EEvPKT0_PKjPS4_
		.amdhsa_group_segment_fixed_size 4096
		.amdhsa_private_segment_fixed_size 0
		.amdhsa_kernarg_size 24
		.amdhsa_user_sgpr_count 6
		.amdhsa_user_sgpr_private_segment_buffer 1
		.amdhsa_user_sgpr_dispatch_ptr 0
		.amdhsa_user_sgpr_queue_ptr 0
		.amdhsa_user_sgpr_kernarg_segment_ptr 1
		.amdhsa_user_sgpr_dispatch_id 0
		.amdhsa_user_sgpr_flat_scratch_init 0
		.amdhsa_user_sgpr_kernarg_preload_length 0
		.amdhsa_user_sgpr_kernarg_preload_offset 0
		.amdhsa_user_sgpr_private_segment_size 0
		.amdhsa_uses_dynamic_stack 0
		.amdhsa_system_sgpr_private_segment_wavefront_offset 0
		.amdhsa_system_sgpr_workgroup_id_x 1
		.amdhsa_system_sgpr_workgroup_id_y 0
		.amdhsa_system_sgpr_workgroup_id_z 0
		.amdhsa_system_sgpr_workgroup_info 0
		.amdhsa_system_vgpr_workitem_id 0
		.amdhsa_next_free_vgpr 7
		.amdhsa_next_free_sgpr 7
		.amdhsa_accum_offset 8
		.amdhsa_reserve_vcc 1
		.amdhsa_reserve_flat_scratch 0
		.amdhsa_float_round_mode_32 0
		.amdhsa_float_round_mode_16_64 0
		.amdhsa_float_denorm_mode_32 3
		.amdhsa_float_denorm_mode_16_64 3
		.amdhsa_dx10_clamp 1
		.amdhsa_ieee_mode 1
		.amdhsa_fp16_overflow 0
		.amdhsa_tg_split 0
		.amdhsa_exception_fp_ieee_invalid_op 0
		.amdhsa_exception_fp_denorm_src 0
		.amdhsa_exception_fp_ieee_div_zero 0
		.amdhsa_exception_fp_ieee_overflow 0
		.amdhsa_exception_fp_ieee_underflow 0
		.amdhsa_exception_fp_ieee_inexact 0
		.amdhsa_exception_int_div_zero 0
	.end_amdhsa_kernel
	.section	.text._Z6kernelI23warp_striped_to_blockedN15benchmark_utils11custom_typeIddEELj256ELj1ELj100EEvPKT0_PKjPS4_,"axG",@progbits,_Z6kernelI23warp_striped_to_blockedN15benchmark_utils11custom_typeIddEELj256ELj1ELj100EEvPKT0_PKjPS4_,comdat
.Lfunc_end114:
	.size	_Z6kernelI23warp_striped_to_blockedN15benchmark_utils11custom_typeIddEELj256ELj1ELj100EEvPKT0_PKjPS4_, .Lfunc_end114-_Z6kernelI23warp_striped_to_blockedN15benchmark_utils11custom_typeIddEELj256ELj1ELj100EEvPKT0_PKjPS4_
                                        ; -- End function
	.section	.AMDGPU.csdata,"",@progbits
; Kernel info:
; codeLenInByte = 176
; NumSgprs: 11
; NumVgprs: 7
; NumAgprs: 0
; TotalNumVgprs: 7
; ScratchSize: 0
; MemoryBound: 0
; FloatMode: 240
; IeeeMode: 1
; LDSByteSize: 4096 bytes/workgroup (compile time only)
; SGPRBlocks: 1
; VGPRBlocks: 0
; NumSGPRsForWavesPerEU: 11
; NumVGPRsForWavesPerEU: 7
; AccumOffset: 8
; Occupancy: 8
; WaveLimiterHint : 0
; COMPUTE_PGM_RSRC2:SCRATCH_EN: 0
; COMPUTE_PGM_RSRC2:USER_SGPR: 6
; COMPUTE_PGM_RSRC2:TRAP_HANDLER: 0
; COMPUTE_PGM_RSRC2:TGID_X_EN: 1
; COMPUTE_PGM_RSRC2:TGID_Y_EN: 0
; COMPUTE_PGM_RSRC2:TGID_Z_EN: 0
; COMPUTE_PGM_RSRC2:TIDIG_COMP_CNT: 0
; COMPUTE_PGM_RSRC3_GFX90A:ACCUM_OFFSET: 1
; COMPUTE_PGM_RSRC3_GFX90A:TG_SPLIT: 0
	.section	.text._Z6kernelI23warp_striped_to_blockedN15benchmark_utils11custom_typeIddEELj256ELj2ELj100EEvPKT0_PKjPS4_,"axG",@progbits,_Z6kernelI23warp_striped_to_blockedN15benchmark_utils11custom_typeIddEELj256ELj2ELj100EEvPKT0_PKjPS4_,comdat
	.protected	_Z6kernelI23warp_striped_to_blockedN15benchmark_utils11custom_typeIddEELj256ELj2ELj100EEvPKT0_PKjPS4_ ; -- Begin function _Z6kernelI23warp_striped_to_blockedN15benchmark_utils11custom_typeIddEELj256ELj2ELj100EEvPKT0_PKjPS4_
	.globl	_Z6kernelI23warp_striped_to_blockedN15benchmark_utils11custom_typeIddEELj256ELj2ELj100EEvPKT0_PKjPS4_
	.p2align	8
	.type	_Z6kernelI23warp_striped_to_blockedN15benchmark_utils11custom_typeIddEELj256ELj2ELj100EEvPKT0_PKjPS4_,@function
_Z6kernelI23warp_striped_to_blockedN15benchmark_utils11custom_typeIddEELj256ELj2ELj100EEvPKT0_PKjPS4_: ; @_Z6kernelI23warp_striped_to_blockedN15benchmark_utils11custom_typeIddEELj256ELj2ELj100EEvPKT0_PKjPS4_
; %bb.0:
	s_load_dwordx2 s[2:3], s[4:5], 0x0
	s_lshl_b32 s0, s6, 9
	s_mov_b32 s1, 0
	s_lshl_b64 s[0:1], s[0:1], 4
	v_mbcnt_lo_u32_b32 v1, -1, 0
	s_waitcnt lgkmcnt(0)
	s_add_u32 s2, s2, s0
	v_mbcnt_hi_u32_b32 v12, -1, v1
	s_addc_u32 s3, s3, s1
	v_lshlrev_b32_e32 v1, 1, v0
	v_lshlrev_b32_e32 v2, 4, v12
	v_and_b32_e32 v13, 0x180, v1
	v_mov_b32_e32 v3, s3
	v_add_co_u32_e32 v2, vcc, s2, v2
	v_addc_co_u32_e32 v3, vcc, 0, v3, vcc
	v_lshlrev_b32_e32 v4, 4, v13
	v_add_co_u32_e32 v10, vcc, v2, v4
	v_addc_co_u32_e32 v11, vcc, 0, v3, vcc
	global_load_dwordx4 v[6:9], v[10:11], off
	global_load_dwordx4 v[2:5], v[10:11], off offset:1024
	v_or_b32_e32 v11, v12, v13
	v_lshrrev_b16_e32 v10, 1, v11
	v_lshlrev_b32_e32 v13, 4, v11
	v_add_u32_e32 v11, 64, v11
	v_and_b32_e32 v0, 0xc0, v0
	v_lshrrev_b32_e32 v11, 1, v11
	v_add_u32_e32 v0, v12, v0
	v_and_b32_e32 v10, 0xf0, v10
	v_and_b32_e32 v11, 0x1f0, v11
	v_lshlrev_b32_e32 v12, 1, v0
	v_bfe_u32 v0, v0, 4, 27
	v_add_u32_e32 v10, v10, v13
	v_add_u32_e32 v11, v11, v13
	v_add_lshl_u32 v0, v0, v12, 4
	s_movk_i32 s2, 0x64
.LBB115_1:                              ; =>This Inner Loop Header: Depth=1
	s_waitcnt vmcnt(1)
	ds_write_b128 v10, v[6:9]
	s_waitcnt vmcnt(0)
	ds_write_b128 v11, v[2:5] offset:1024
	; wave barrier
	ds_read_b128 v[6:9], v0
	ds_read_b128 v[2:5], v0 offset:16
	s_add_i32 s2, s2, -1
	s_cmp_lg_u32 s2, 0
	s_waitcnt lgkmcnt(0)
	s_barrier
	s_cbranch_scc1 .LBB115_1
; %bb.2:
	s_load_dwordx2 s[2:3], s[4:5], 0x10
	v_lshlrev_b32_e32 v0, 4, v1
	s_waitcnt lgkmcnt(0)
	s_add_u32 s0, s2, s0
	s_addc_u32 s1, s3, s1
	global_store_dwordx4 v0, v[6:9], s[0:1]
	global_store_dwordx4 v0, v[2:5], s[0:1] offset:16
	s_endpgm
	.section	.rodata,"a",@progbits
	.p2align	6, 0x0
	.amdhsa_kernel _Z6kernelI23warp_striped_to_blockedN15benchmark_utils11custom_typeIddEELj256ELj2ELj100EEvPKT0_PKjPS4_
		.amdhsa_group_segment_fixed_size 8448
		.amdhsa_private_segment_fixed_size 0
		.amdhsa_kernarg_size 24
		.amdhsa_user_sgpr_count 6
		.amdhsa_user_sgpr_private_segment_buffer 1
		.amdhsa_user_sgpr_dispatch_ptr 0
		.amdhsa_user_sgpr_queue_ptr 0
		.amdhsa_user_sgpr_kernarg_segment_ptr 1
		.amdhsa_user_sgpr_dispatch_id 0
		.amdhsa_user_sgpr_flat_scratch_init 0
		.amdhsa_user_sgpr_kernarg_preload_length 0
		.amdhsa_user_sgpr_kernarg_preload_offset 0
		.amdhsa_user_sgpr_private_segment_size 0
		.amdhsa_uses_dynamic_stack 0
		.amdhsa_system_sgpr_private_segment_wavefront_offset 0
		.amdhsa_system_sgpr_workgroup_id_x 1
		.amdhsa_system_sgpr_workgroup_id_y 0
		.amdhsa_system_sgpr_workgroup_id_z 0
		.amdhsa_system_sgpr_workgroup_info 0
		.amdhsa_system_vgpr_workitem_id 0
		.amdhsa_next_free_vgpr 14
		.amdhsa_next_free_sgpr 7
		.amdhsa_accum_offset 16
		.amdhsa_reserve_vcc 1
		.amdhsa_reserve_flat_scratch 0
		.amdhsa_float_round_mode_32 0
		.amdhsa_float_round_mode_16_64 0
		.amdhsa_float_denorm_mode_32 3
		.amdhsa_float_denorm_mode_16_64 3
		.amdhsa_dx10_clamp 1
		.amdhsa_ieee_mode 1
		.amdhsa_fp16_overflow 0
		.amdhsa_tg_split 0
		.amdhsa_exception_fp_ieee_invalid_op 0
		.amdhsa_exception_fp_denorm_src 0
		.amdhsa_exception_fp_ieee_div_zero 0
		.amdhsa_exception_fp_ieee_overflow 0
		.amdhsa_exception_fp_ieee_underflow 0
		.amdhsa_exception_fp_ieee_inexact 0
		.amdhsa_exception_int_div_zero 0
	.end_amdhsa_kernel
	.section	.text._Z6kernelI23warp_striped_to_blockedN15benchmark_utils11custom_typeIddEELj256ELj2ELj100EEvPKT0_PKjPS4_,"axG",@progbits,_Z6kernelI23warp_striped_to_blockedN15benchmark_utils11custom_typeIddEELj256ELj2ELj100EEvPKT0_PKjPS4_,comdat
.Lfunc_end115:
	.size	_Z6kernelI23warp_striped_to_blockedN15benchmark_utils11custom_typeIddEELj256ELj2ELj100EEvPKT0_PKjPS4_, .Lfunc_end115-_Z6kernelI23warp_striped_to_blockedN15benchmark_utils11custom_typeIddEELj256ELj2ELj100EEvPKT0_PKjPS4_
                                        ; -- End function
	.section	.AMDGPU.csdata,"",@progbits
; Kernel info:
; codeLenInByte = 288
; NumSgprs: 11
; NumVgprs: 14
; NumAgprs: 0
; TotalNumVgprs: 14
; ScratchSize: 0
; MemoryBound: 0
; FloatMode: 240
; IeeeMode: 1
; LDSByteSize: 8448 bytes/workgroup (compile time only)
; SGPRBlocks: 1
; VGPRBlocks: 1
; NumSGPRsForWavesPerEU: 11
; NumVGPRsForWavesPerEU: 14
; AccumOffset: 16
; Occupancy: 7
; WaveLimiterHint : 1
; COMPUTE_PGM_RSRC2:SCRATCH_EN: 0
; COMPUTE_PGM_RSRC2:USER_SGPR: 6
; COMPUTE_PGM_RSRC2:TRAP_HANDLER: 0
; COMPUTE_PGM_RSRC2:TGID_X_EN: 1
; COMPUTE_PGM_RSRC2:TGID_Y_EN: 0
; COMPUTE_PGM_RSRC2:TGID_Z_EN: 0
; COMPUTE_PGM_RSRC2:TIDIG_COMP_CNT: 0
; COMPUTE_PGM_RSRC3_GFX90A:ACCUM_OFFSET: 3
; COMPUTE_PGM_RSRC3_GFX90A:TG_SPLIT: 0
	.section	.text._Z6kernelI23warp_striped_to_blockedN15benchmark_utils11custom_typeIddEELj256ELj3ELj100EEvPKT0_PKjPS4_,"axG",@progbits,_Z6kernelI23warp_striped_to_blockedN15benchmark_utils11custom_typeIddEELj256ELj3ELj100EEvPKT0_PKjPS4_,comdat
	.protected	_Z6kernelI23warp_striped_to_blockedN15benchmark_utils11custom_typeIddEELj256ELj3ELj100EEvPKT0_PKjPS4_ ; -- Begin function _Z6kernelI23warp_striped_to_blockedN15benchmark_utils11custom_typeIddEELj256ELj3ELj100EEvPKT0_PKjPS4_
	.globl	_Z6kernelI23warp_striped_to_blockedN15benchmark_utils11custom_typeIddEELj256ELj3ELj100EEvPKT0_PKjPS4_
	.p2align	8
	.type	_Z6kernelI23warp_striped_to_blockedN15benchmark_utils11custom_typeIddEELj256ELj3ELj100EEvPKT0_PKjPS4_,@function
_Z6kernelI23warp_striped_to_blockedN15benchmark_utils11custom_typeIddEELj256ELj3ELj100EEvPKT0_PKjPS4_: ; @_Z6kernelI23warp_striped_to_blockedN15benchmark_utils11custom_typeIddEELj256ELj3ELj100EEvPKT0_PKjPS4_
; %bb.0:
	s_load_dwordx2 s[2:3], s[4:5], 0x0
	s_mul_i32 s0, s6, 0x300
	s_mov_b32 s1, 0
	s_lshl_b64 s[0:1], s[0:1], 4
	v_mbcnt_lo_u32_b32 v1, -1, 0
	s_waitcnt lgkmcnt(0)
	s_add_u32 s2, s2, s0
	v_mbcnt_hi_u32_b32 v16, -1, v1
	s_addc_u32 s3, s3, s1
	v_and_b32_e32 v1, 0xc0, v0
	v_lshlrev_b32_e32 v17, 4, v16
	v_mul_u32_u24_e32 v1, 3, v1
	v_mov_b32_e32 v2, s3
	v_add_co_u32_e32 v3, vcc, s2, v17
	v_addc_co_u32_e32 v2, vcc, 0, v2, vcc
	v_lshlrev_b32_e32 v1, 4, v1
	v_add_co_u32_e32 v14, vcc, v3, v1
	v_addc_co_u32_e32 v15, vcc, 0, v2, vcc
	global_load_dwordx4 v[10:13], v[14:15], off
	global_load_dwordx4 v[6:9], v[14:15], off offset:1024
	global_load_dwordx4 v[2:5], v[14:15], off offset:2048
	v_lshrrev_b32_e32 v1, 6, v0
	v_mul_u32_u24_e32 v14, 0xc0, v1
	v_mul_u32_u24_e32 v15, 3, v16
	v_lshl_add_u32 v1, v14, 4, v17
	v_add_lshl_u32 v14, v15, v14, 4
	s_movk_i32 s2, 0x64
.LBB116_1:                              ; =>This Inner Loop Header: Depth=1
	s_waitcnt vmcnt(2)
	ds_write_b128 v1, v[10:13]
	s_waitcnt vmcnt(1)
	ds_write_b128 v1, v[6:9] offset:1024
	s_waitcnt vmcnt(0)
	ds_write_b128 v1, v[2:5] offset:2048
	; wave barrier
	ds_read_b128 v[10:13], v14
	ds_read_b128 v[6:9], v14 offset:16
	ds_read_b128 v[2:5], v14 offset:32
	s_add_i32 s2, s2, -1
	s_cmp_lg_u32 s2, 0
	s_waitcnt lgkmcnt(0)
	s_barrier
	s_cbranch_scc1 .LBB116_1
; %bb.2:
	s_load_dwordx2 s[2:3], s[4:5], 0x10
	v_mul_u32_u24_e32 v0, 3, v0
	v_lshlrev_b32_e32 v0, 4, v0
	s_waitcnt lgkmcnt(0)
	s_add_u32 s0, s2, s0
	s_addc_u32 s1, s3, s1
	global_store_dwordx4 v0, v[10:13], s[0:1]
	global_store_dwordx4 v0, v[6:9], s[0:1] offset:16
	global_store_dwordx4 v0, v[2:5], s[0:1] offset:32
	s_endpgm
	.section	.rodata,"a",@progbits
	.p2align	6, 0x0
	.amdhsa_kernel _Z6kernelI23warp_striped_to_blockedN15benchmark_utils11custom_typeIddEELj256ELj3ELj100EEvPKT0_PKjPS4_
		.amdhsa_group_segment_fixed_size 12288
		.amdhsa_private_segment_fixed_size 0
		.amdhsa_kernarg_size 24
		.amdhsa_user_sgpr_count 6
		.amdhsa_user_sgpr_private_segment_buffer 1
		.amdhsa_user_sgpr_dispatch_ptr 0
		.amdhsa_user_sgpr_queue_ptr 0
		.amdhsa_user_sgpr_kernarg_segment_ptr 1
		.amdhsa_user_sgpr_dispatch_id 0
		.amdhsa_user_sgpr_flat_scratch_init 0
		.amdhsa_user_sgpr_kernarg_preload_length 0
		.amdhsa_user_sgpr_kernarg_preload_offset 0
		.amdhsa_user_sgpr_private_segment_size 0
		.amdhsa_uses_dynamic_stack 0
		.amdhsa_system_sgpr_private_segment_wavefront_offset 0
		.amdhsa_system_sgpr_workgroup_id_x 1
		.amdhsa_system_sgpr_workgroup_id_y 0
		.amdhsa_system_sgpr_workgroup_id_z 0
		.amdhsa_system_sgpr_workgroup_info 0
		.amdhsa_system_vgpr_workitem_id 0
		.amdhsa_next_free_vgpr 18
		.amdhsa_next_free_sgpr 7
		.amdhsa_accum_offset 20
		.amdhsa_reserve_vcc 1
		.amdhsa_reserve_flat_scratch 0
		.amdhsa_float_round_mode_32 0
		.amdhsa_float_round_mode_16_64 0
		.amdhsa_float_denorm_mode_32 3
		.amdhsa_float_denorm_mode_16_64 3
		.amdhsa_dx10_clamp 1
		.amdhsa_ieee_mode 1
		.amdhsa_fp16_overflow 0
		.amdhsa_tg_split 0
		.amdhsa_exception_fp_ieee_invalid_op 0
		.amdhsa_exception_fp_denorm_src 0
		.amdhsa_exception_fp_ieee_div_zero 0
		.amdhsa_exception_fp_ieee_overflow 0
		.amdhsa_exception_fp_ieee_underflow 0
		.amdhsa_exception_fp_ieee_inexact 0
		.amdhsa_exception_int_div_zero 0
	.end_amdhsa_kernel
	.section	.text._Z6kernelI23warp_striped_to_blockedN15benchmark_utils11custom_typeIddEELj256ELj3ELj100EEvPKT0_PKjPS4_,"axG",@progbits,_Z6kernelI23warp_striped_to_blockedN15benchmark_utils11custom_typeIddEELj256ELj3ELj100EEvPKT0_PKjPS4_,comdat
.Lfunc_end116:
	.size	_Z6kernelI23warp_striped_to_blockedN15benchmark_utils11custom_typeIddEELj256ELj3ELj100EEvPKT0_PKjPS4_, .Lfunc_end116-_Z6kernelI23warp_striped_to_blockedN15benchmark_utils11custom_typeIddEELj256ELj3ELj100EEvPKT0_PKjPS4_
                                        ; -- End function
	.section	.AMDGPU.csdata,"",@progbits
; Kernel info:
; codeLenInByte = 288
; NumSgprs: 11
; NumVgprs: 18
; NumAgprs: 0
; TotalNumVgprs: 18
; ScratchSize: 0
; MemoryBound: 0
; FloatMode: 240
; IeeeMode: 1
; LDSByteSize: 12288 bytes/workgroup (compile time only)
; SGPRBlocks: 1
; VGPRBlocks: 2
; NumSGPRsForWavesPerEU: 11
; NumVGPRsForWavesPerEU: 18
; AccumOffset: 20
; Occupancy: 5
; WaveLimiterHint : 1
; COMPUTE_PGM_RSRC2:SCRATCH_EN: 0
; COMPUTE_PGM_RSRC2:USER_SGPR: 6
; COMPUTE_PGM_RSRC2:TRAP_HANDLER: 0
; COMPUTE_PGM_RSRC2:TGID_X_EN: 1
; COMPUTE_PGM_RSRC2:TGID_Y_EN: 0
; COMPUTE_PGM_RSRC2:TGID_Z_EN: 0
; COMPUTE_PGM_RSRC2:TIDIG_COMP_CNT: 0
; COMPUTE_PGM_RSRC3_GFX90A:ACCUM_OFFSET: 4
; COMPUTE_PGM_RSRC3_GFX90A:TG_SPLIT: 0
	.section	.text._Z6kernelI23warp_striped_to_blockedN15benchmark_utils11custom_typeIddEELj256ELj4ELj100EEvPKT0_PKjPS4_,"axG",@progbits,_Z6kernelI23warp_striped_to_blockedN15benchmark_utils11custom_typeIddEELj256ELj4ELj100EEvPKT0_PKjPS4_,comdat
	.protected	_Z6kernelI23warp_striped_to_blockedN15benchmark_utils11custom_typeIddEELj256ELj4ELj100EEvPKT0_PKjPS4_ ; -- Begin function _Z6kernelI23warp_striped_to_blockedN15benchmark_utils11custom_typeIddEELj256ELj4ELj100EEvPKT0_PKjPS4_
	.globl	_Z6kernelI23warp_striped_to_blockedN15benchmark_utils11custom_typeIddEELj256ELj4ELj100EEvPKT0_PKjPS4_
	.p2align	8
	.type	_Z6kernelI23warp_striped_to_blockedN15benchmark_utils11custom_typeIddEELj256ELj4ELj100EEvPKT0_PKjPS4_,@function
_Z6kernelI23warp_striped_to_blockedN15benchmark_utils11custom_typeIddEELj256ELj4ELj100EEvPKT0_PKjPS4_: ; @_Z6kernelI23warp_striped_to_blockedN15benchmark_utils11custom_typeIddEELj256ELj4ELj100EEvPKT0_PKjPS4_
; %bb.0:
	s_load_dwordx2 s[2:3], s[4:5], 0x0
	s_lshl_b32 s0, s6, 10
	s_mov_b32 s1, 0
	s_lshl_b64 s[0:1], s[0:1], 4
	v_mbcnt_lo_u32_b32 v1, -1, 0
	s_waitcnt lgkmcnt(0)
	s_add_u32 s2, s2, s0
	v_mbcnt_hi_u32_b32 v22, -1, v1
	s_addc_u32 s3, s3, s1
	v_lshlrev_b32_e32 v1, 2, v0
	v_lshlrev_b32_e32 v2, 4, v22
	v_and_b32_e32 v20, 0x300, v1
	v_mov_b32_e32 v3, s3
	v_add_co_u32_e32 v2, vcc, s2, v2
	v_addc_co_u32_e32 v3, vcc, 0, v3, vcc
	v_lshlrev_b32_e32 v4, 4, v20
	v_add_co_u32_e32 v18, vcc, v2, v4
	v_addc_co_u32_e32 v19, vcc, 0, v3, vcc
	global_load_dwordx4 v[14:17], v[18:19], off
	global_load_dwordx4 v[10:13], v[18:19], off offset:1024
	global_load_dwordx4 v[6:9], v[18:19], off offset:2048
	;; [unrolled: 1-line block ×3, first 2 shown]
	v_or_b32_e32 v21, v22, v20
	v_lshrrev_b16_e32 v18, 1, v21
	v_lshlrev_b32_e32 v23, 4, v21
	v_add_u32_e32 v19, 64, v21
	v_or_b32_e32 v20, 0x80, v21
	v_add_u32_e32 v21, 0xc0, v21
	v_and_b32_e32 v0, 0xc0, v0
	v_lshrrev_b32_e32 v19, 1, v19
	v_lshrrev_b32_e32 v20, 1, v20
	;; [unrolled: 1-line block ×3, first 2 shown]
	v_add_u32_e32 v0, v22, v0
	v_and_b32_e32 v18, 0x1b0, v18
	v_and_b32_e32 v19, 0x1f0, v19
	;; [unrolled: 1-line block ×4, first 2 shown]
	v_lshlrev_b32_e32 v22, 2, v0
	v_bfe_u32 v0, v0, 3, 27
	v_add_u32_e32 v18, v18, v23
	v_add_u32_e32 v19, v19, v23
	;; [unrolled: 1-line block ×4, first 2 shown]
	v_add_lshl_u32 v0, v0, v22, 4
	s_movk_i32 s2, 0x64
.LBB117_1:                              ; =>This Inner Loop Header: Depth=1
	s_waitcnt vmcnt(3)
	ds_write_b128 v18, v[14:17]
	s_waitcnt vmcnt(2)
	ds_write_b128 v19, v[10:13] offset:1024
	s_waitcnt vmcnt(1)
	ds_write_b128 v20, v[6:9] offset:2048
	;; [unrolled: 2-line block ×3, first 2 shown]
	; wave barrier
	ds_read_b128 v[14:17], v0
	ds_read_b128 v[10:13], v0 offset:16
	ds_read_b128 v[6:9], v0 offset:32
	;; [unrolled: 1-line block ×3, first 2 shown]
	s_add_i32 s2, s2, -1
	s_cmp_lg_u32 s2, 0
	s_waitcnt lgkmcnt(0)
	s_barrier
	s_cbranch_scc1 .LBB117_1
; %bb.2:
	s_load_dwordx2 s[2:3], s[4:5], 0x10
	v_lshlrev_b32_e32 v0, 4, v1
	s_waitcnt lgkmcnt(0)
	s_add_u32 s0, s2, s0
	s_addc_u32 s1, s3, s1
	global_store_dwordx4 v0, v[14:17], s[0:1]
	global_store_dwordx4 v0, v[10:13], s[0:1] offset:16
	global_store_dwordx4 v0, v[6:9], s[0:1] offset:32
	;; [unrolled: 1-line block ×3, first 2 shown]
	s_endpgm
	.section	.rodata,"a",@progbits
	.p2align	6, 0x0
	.amdhsa_kernel _Z6kernelI23warp_striped_to_blockedN15benchmark_utils11custom_typeIddEELj256ELj4ELj100EEvPKT0_PKjPS4_
		.amdhsa_group_segment_fixed_size 16896
		.amdhsa_private_segment_fixed_size 0
		.amdhsa_kernarg_size 24
		.amdhsa_user_sgpr_count 6
		.amdhsa_user_sgpr_private_segment_buffer 1
		.amdhsa_user_sgpr_dispatch_ptr 0
		.amdhsa_user_sgpr_queue_ptr 0
		.amdhsa_user_sgpr_kernarg_segment_ptr 1
		.amdhsa_user_sgpr_dispatch_id 0
		.amdhsa_user_sgpr_flat_scratch_init 0
		.amdhsa_user_sgpr_kernarg_preload_length 0
		.amdhsa_user_sgpr_kernarg_preload_offset 0
		.amdhsa_user_sgpr_private_segment_size 0
		.amdhsa_uses_dynamic_stack 0
		.amdhsa_system_sgpr_private_segment_wavefront_offset 0
		.amdhsa_system_sgpr_workgroup_id_x 1
		.amdhsa_system_sgpr_workgroup_id_y 0
		.amdhsa_system_sgpr_workgroup_id_z 0
		.amdhsa_system_sgpr_workgroup_info 0
		.amdhsa_system_vgpr_workitem_id 0
		.amdhsa_next_free_vgpr 24
		.amdhsa_next_free_sgpr 7
		.amdhsa_accum_offset 24
		.amdhsa_reserve_vcc 1
		.amdhsa_reserve_flat_scratch 0
		.amdhsa_float_round_mode_32 0
		.amdhsa_float_round_mode_16_64 0
		.amdhsa_float_denorm_mode_32 3
		.amdhsa_float_denorm_mode_16_64 3
		.amdhsa_dx10_clamp 1
		.amdhsa_ieee_mode 1
		.amdhsa_fp16_overflow 0
		.amdhsa_tg_split 0
		.amdhsa_exception_fp_ieee_invalid_op 0
		.amdhsa_exception_fp_denorm_src 0
		.amdhsa_exception_fp_ieee_div_zero 0
		.amdhsa_exception_fp_ieee_overflow 0
		.amdhsa_exception_fp_ieee_underflow 0
		.amdhsa_exception_fp_ieee_inexact 0
		.amdhsa_exception_int_div_zero 0
	.end_amdhsa_kernel
	.section	.text._Z6kernelI23warp_striped_to_blockedN15benchmark_utils11custom_typeIddEELj256ELj4ELj100EEvPKT0_PKjPS4_,"axG",@progbits,_Z6kernelI23warp_striped_to_blockedN15benchmark_utils11custom_typeIddEELj256ELj4ELj100EEvPKT0_PKjPS4_,comdat
.Lfunc_end117:
	.size	_Z6kernelI23warp_striped_to_blockedN15benchmark_utils11custom_typeIddEELj256ELj4ELj100EEvPKT0_PKjPS4_, .Lfunc_end117-_Z6kernelI23warp_striped_to_blockedN15benchmark_utils11custom_typeIddEELj256ELj4ELj100EEvPKT0_PKjPS4_
                                        ; -- End function
	.section	.AMDGPU.csdata,"",@progbits
; Kernel info:
; codeLenInByte = 408
; NumSgprs: 11
; NumVgprs: 24
; NumAgprs: 0
; TotalNumVgprs: 24
; ScratchSize: 0
; MemoryBound: 0
; FloatMode: 240
; IeeeMode: 1
; LDSByteSize: 16896 bytes/workgroup (compile time only)
; SGPRBlocks: 1
; VGPRBlocks: 2
; NumSGPRsForWavesPerEU: 11
; NumVGPRsForWavesPerEU: 24
; AccumOffset: 24
; Occupancy: 3
; WaveLimiterHint : 1
; COMPUTE_PGM_RSRC2:SCRATCH_EN: 0
; COMPUTE_PGM_RSRC2:USER_SGPR: 6
; COMPUTE_PGM_RSRC2:TRAP_HANDLER: 0
; COMPUTE_PGM_RSRC2:TGID_X_EN: 1
; COMPUTE_PGM_RSRC2:TGID_Y_EN: 0
; COMPUTE_PGM_RSRC2:TGID_Z_EN: 0
; COMPUTE_PGM_RSRC2:TIDIG_COMP_CNT: 0
; COMPUTE_PGM_RSRC3_GFX90A:ACCUM_OFFSET: 5
; COMPUTE_PGM_RSRC3_GFX90A:TG_SPLIT: 0
	.section	.text._Z6kernelI23warp_striped_to_blockedN15benchmark_utils11custom_typeIddEELj256ELj7ELj100EEvPKT0_PKjPS4_,"axG",@progbits,_Z6kernelI23warp_striped_to_blockedN15benchmark_utils11custom_typeIddEELj256ELj7ELj100EEvPKT0_PKjPS4_,comdat
	.protected	_Z6kernelI23warp_striped_to_blockedN15benchmark_utils11custom_typeIddEELj256ELj7ELj100EEvPKT0_PKjPS4_ ; -- Begin function _Z6kernelI23warp_striped_to_blockedN15benchmark_utils11custom_typeIddEELj256ELj7ELj100EEvPKT0_PKjPS4_
	.globl	_Z6kernelI23warp_striped_to_blockedN15benchmark_utils11custom_typeIddEELj256ELj7ELj100EEvPKT0_PKjPS4_
	.p2align	8
	.type	_Z6kernelI23warp_striped_to_blockedN15benchmark_utils11custom_typeIddEELj256ELj7ELj100EEvPKT0_PKjPS4_,@function
_Z6kernelI23warp_striped_to_blockedN15benchmark_utils11custom_typeIddEELj256ELj7ELj100EEvPKT0_PKjPS4_: ; @_Z6kernelI23warp_striped_to_blockedN15benchmark_utils11custom_typeIddEELj256ELj7ELj100EEvPKT0_PKjPS4_
; %bb.0:
	s_load_dwordx2 s[2:3], s[4:5], 0x0
	s_mul_i32 s0, s6, 0x700
	s_mov_b32 s1, 0
	s_lshl_b64 s[0:1], s[0:1], 4
	v_mbcnt_lo_u32_b32 v1, -1, 0
	s_waitcnt lgkmcnt(0)
	s_add_u32 s2, s2, s0
	v_mbcnt_hi_u32_b32 v32, -1, v1
	s_addc_u32 s3, s3, s1
	v_and_b32_e32 v1, 0xc0, v0
	v_lshlrev_b32_e32 v33, 4, v32
	v_mul_u32_u24_e32 v1, 7, v1
	v_mov_b32_e32 v2, s3
	v_add_co_u32_e32 v3, vcc, s2, v33
	v_addc_co_u32_e32 v2, vcc, 0, v2, vcc
	v_lshlrev_b32_e32 v1, 4, v1
	v_add_co_u32_e32 v18, vcc, v3, v1
	v_addc_co_u32_e32 v19, vcc, 0, v2, vcc
	s_movk_i32 s2, 0x1000
	v_add_co_u32_e32 v30, vcc, s2, v18
	global_load_dwordx4 v[14:17], v[18:19], off
	global_load_dwordx4 v[10:13], v[18:19], off offset:1024
	global_load_dwordx4 v[6:9], v[18:19], off offset:2048
	;; [unrolled: 1-line block ×3, first 2 shown]
	v_addc_co_u32_e32 v31, vcc, 0, v19, vcc
	global_load_dwordx4 v[18:21], v[30:31], off
	global_load_dwordx4 v[22:25], v[30:31], off offset:1024
	global_load_dwordx4 v[26:29], v[30:31], off offset:2048
	v_lshrrev_b32_e32 v1, 6, v0
	v_mul_u32_u24_e32 v30, 0x1c0, v1
	v_mul_u32_u24_e32 v31, 7, v32
	v_lshl_add_u32 v1, v30, 4, v33
	v_add_lshl_u32 v30, v31, v30, 4
	s_movk_i32 s2, 0x64
.LBB118_1:                              ; =>This Inner Loop Header: Depth=1
	s_waitcnt vmcnt(6)
	ds_write_b128 v1, v[14:17]
	s_waitcnt vmcnt(5)
	ds_write_b128 v1, v[10:13] offset:1024
	s_waitcnt vmcnt(4)
	ds_write_b128 v1, v[6:9] offset:2048
	;; [unrolled: 2-line block ×6, first 2 shown]
	; wave barrier
	ds_read_b128 v[14:17], v30
	ds_read_b128 v[10:13], v30 offset:16
	ds_read_b128 v[6:9], v30 offset:32
	;; [unrolled: 1-line block ×6, first 2 shown]
	s_add_i32 s2, s2, -1
	s_cmp_lg_u32 s2, 0
	s_waitcnt lgkmcnt(0)
	s_barrier
	s_cbranch_scc1 .LBB118_1
; %bb.2:
	s_load_dwordx2 s[2:3], s[4:5], 0x10
	v_mul_u32_u24_e32 v0, 7, v0
	v_lshlrev_b32_e32 v0, 4, v0
	s_waitcnt lgkmcnt(0)
	s_add_u32 s0, s2, s0
	s_addc_u32 s1, s3, s1
	global_store_dwordx4 v0, v[14:17], s[0:1]
	global_store_dwordx4 v0, v[10:13], s[0:1] offset:16
	global_store_dwordx4 v0, v[6:9], s[0:1] offset:32
	;; [unrolled: 1-line block ×6, first 2 shown]
	s_endpgm
	.section	.rodata,"a",@progbits
	.p2align	6, 0x0
	.amdhsa_kernel _Z6kernelI23warp_striped_to_blockedN15benchmark_utils11custom_typeIddEELj256ELj7ELj100EEvPKT0_PKjPS4_
		.amdhsa_group_segment_fixed_size 28672
		.amdhsa_private_segment_fixed_size 0
		.amdhsa_kernarg_size 24
		.amdhsa_user_sgpr_count 6
		.amdhsa_user_sgpr_private_segment_buffer 1
		.amdhsa_user_sgpr_dispatch_ptr 0
		.amdhsa_user_sgpr_queue_ptr 0
		.amdhsa_user_sgpr_kernarg_segment_ptr 1
		.amdhsa_user_sgpr_dispatch_id 0
		.amdhsa_user_sgpr_flat_scratch_init 0
		.amdhsa_user_sgpr_kernarg_preload_length 0
		.amdhsa_user_sgpr_kernarg_preload_offset 0
		.amdhsa_user_sgpr_private_segment_size 0
		.amdhsa_uses_dynamic_stack 0
		.amdhsa_system_sgpr_private_segment_wavefront_offset 0
		.amdhsa_system_sgpr_workgroup_id_x 1
		.amdhsa_system_sgpr_workgroup_id_y 0
		.amdhsa_system_sgpr_workgroup_id_z 0
		.amdhsa_system_sgpr_workgroup_info 0
		.amdhsa_system_vgpr_workitem_id 0
		.amdhsa_next_free_vgpr 34
		.amdhsa_next_free_sgpr 7
		.amdhsa_accum_offset 36
		.amdhsa_reserve_vcc 1
		.amdhsa_reserve_flat_scratch 0
		.amdhsa_float_round_mode_32 0
		.amdhsa_float_round_mode_16_64 0
		.amdhsa_float_denorm_mode_32 3
		.amdhsa_float_denorm_mode_16_64 3
		.amdhsa_dx10_clamp 1
		.amdhsa_ieee_mode 1
		.amdhsa_fp16_overflow 0
		.amdhsa_tg_split 0
		.amdhsa_exception_fp_ieee_invalid_op 0
		.amdhsa_exception_fp_denorm_src 0
		.amdhsa_exception_fp_ieee_div_zero 0
		.amdhsa_exception_fp_ieee_overflow 0
		.amdhsa_exception_fp_ieee_underflow 0
		.amdhsa_exception_fp_ieee_inexact 0
		.amdhsa_exception_int_div_zero 0
	.end_amdhsa_kernel
	.section	.text._Z6kernelI23warp_striped_to_blockedN15benchmark_utils11custom_typeIddEELj256ELj7ELj100EEvPKT0_PKjPS4_,"axG",@progbits,_Z6kernelI23warp_striped_to_blockedN15benchmark_utils11custom_typeIddEELj256ELj7ELj100EEvPKT0_PKjPS4_,comdat
.Lfunc_end118:
	.size	_Z6kernelI23warp_striped_to_blockedN15benchmark_utils11custom_typeIddEELj256ELj7ELj100EEvPKT0_PKjPS4_, .Lfunc_end118-_Z6kernelI23warp_striped_to_blockedN15benchmark_utils11custom_typeIddEELj256ELj7ELj100EEvPKT0_PKjPS4_
                                        ; -- End function
	.section	.AMDGPU.csdata,"",@progbits
; Kernel info:
; codeLenInByte = 444
; NumSgprs: 11
; NumVgprs: 34
; NumAgprs: 0
; TotalNumVgprs: 34
; ScratchSize: 0
; MemoryBound: 1
; FloatMode: 240
; IeeeMode: 1
; LDSByteSize: 28672 bytes/workgroup (compile time only)
; SGPRBlocks: 1
; VGPRBlocks: 4
; NumSGPRsForWavesPerEU: 11
; NumVGPRsForWavesPerEU: 34
; AccumOffset: 36
; Occupancy: 2
; WaveLimiterHint : 1
; COMPUTE_PGM_RSRC2:SCRATCH_EN: 0
; COMPUTE_PGM_RSRC2:USER_SGPR: 6
; COMPUTE_PGM_RSRC2:TRAP_HANDLER: 0
; COMPUTE_PGM_RSRC2:TGID_X_EN: 1
; COMPUTE_PGM_RSRC2:TGID_Y_EN: 0
; COMPUTE_PGM_RSRC2:TGID_Z_EN: 0
; COMPUTE_PGM_RSRC2:TIDIG_COMP_CNT: 0
; COMPUTE_PGM_RSRC3_GFX90A:ACCUM_OFFSET: 8
; COMPUTE_PGM_RSRC3_GFX90A:TG_SPLIT: 0
	.section	.text._Z6kernelI23warp_striped_to_blockedN15benchmark_utils11custom_typeIddEELj256ELj8ELj100EEvPKT0_PKjPS4_,"axG",@progbits,_Z6kernelI23warp_striped_to_blockedN15benchmark_utils11custom_typeIddEELj256ELj8ELj100EEvPKT0_PKjPS4_,comdat
	.protected	_Z6kernelI23warp_striped_to_blockedN15benchmark_utils11custom_typeIddEELj256ELj8ELj100EEvPKT0_PKjPS4_ ; -- Begin function _Z6kernelI23warp_striped_to_blockedN15benchmark_utils11custom_typeIddEELj256ELj8ELj100EEvPKT0_PKjPS4_
	.globl	_Z6kernelI23warp_striped_to_blockedN15benchmark_utils11custom_typeIddEELj256ELj8ELj100EEvPKT0_PKjPS4_
	.p2align	8
	.type	_Z6kernelI23warp_striped_to_blockedN15benchmark_utils11custom_typeIddEELj256ELj8ELj100EEvPKT0_PKjPS4_,@function
_Z6kernelI23warp_striped_to_blockedN15benchmark_utils11custom_typeIddEELj256ELj8ELj100EEvPKT0_PKjPS4_: ; @_Z6kernelI23warp_striped_to_blockedN15benchmark_utils11custom_typeIddEELj256ELj8ELj100EEvPKT0_PKjPS4_
; %bb.0:
	s_load_dwordx2 s[2:3], s[4:5], 0x0
	s_lshl_b32 s0, s6, 11
	s_mov_b32 s1, 0
	s_lshl_b64 s[0:1], s[0:1], 4
	v_mbcnt_lo_u32_b32 v1, -1, 0
	s_waitcnt lgkmcnt(0)
	s_add_u32 s2, s2, s0
	v_mbcnt_hi_u32_b32 v42, -1, v1
	s_addc_u32 s3, s3, s1
	v_lshlrev_b32_e32 v1, 3, v0
	v_lshlrev_b32_e32 v2, 4, v42
	v_and_b32_e32 v36, 0x600, v1
	v_mov_b32_e32 v3, s3
	v_add_co_u32_e32 v2, vcc, s2, v2
	v_addc_co_u32_e32 v3, vcc, 0, v3, vcc
	v_lshlrev_b32_e32 v4, 4, v36
	v_add_co_u32_e32 v18, vcc, v2, v4
	v_addc_co_u32_e32 v19, vcc, 0, v3, vcc
	s_movk_i32 s2, 0x1000
	v_add_co_u32_e32 v34, vcc, s2, v18
	v_addc_co_u32_e32 v35, vcc, 0, v19, vcc
	global_load_dwordx4 v[14:17], v[18:19], off
	global_load_dwordx4 v[10:13], v[18:19], off offset:1024
	global_load_dwordx4 v[6:9], v[18:19], off offset:2048
	;; [unrolled: 1-line block ×3, first 2 shown]
	s_nop 0
	global_load_dwordx4 v[18:21], v[34:35], off
	global_load_dwordx4 v[22:25], v[34:35], off offset:1024
	global_load_dwordx4 v[26:29], v[34:35], off offset:2048
	;; [unrolled: 1-line block ×3, first 2 shown]
	v_or_b32_e32 v41, v42, v36
	v_lshrrev_b16_e32 v34, 1, v41
	v_lshlrev_b32_e32 v43, 4, v41
	v_add_u32_e32 v35, 64, v41
	v_or_b32_e32 v36, 0x80, v41
	v_add_u32_e32 v37, 0xc0, v41
	v_or_b32_e32 v38, 0x100, v41
	;; [unrolled: 2-line block ×3, first 2 shown]
	v_add_u32_e32 v41, 0x1c0, v41
	v_and_b32_e32 v0, 0xc0, v0
	v_lshrrev_b32_e32 v35, 1, v35
	v_lshrrev_b32_e32 v36, 1, v36
	;; [unrolled: 1-line block ×7, first 2 shown]
	v_add_u32_e32 v0, v42, v0
	v_and_b32_e32 v34, 0x330, v34
	v_and_b32_e32 v35, 0x370, v35
	;; [unrolled: 1-line block ×8, first 2 shown]
	v_lshlrev_b32_e32 v42, 3, v0
	v_bfe_u32 v0, v0, 2, 27
	v_add_u32_e32 v34, v34, v43
	v_add_u32_e32 v35, v35, v43
	;; [unrolled: 1-line block ×8, first 2 shown]
	v_add_lshl_u32 v0, v0, v42, 4
	s_movk_i32 s2, 0x64
.LBB119_1:                              ; =>This Inner Loop Header: Depth=1
	s_waitcnt vmcnt(7)
	ds_write_b128 v34, v[14:17]
	s_waitcnt vmcnt(6)
	ds_write_b128 v35, v[10:13] offset:1024
	s_waitcnt vmcnt(5)
	ds_write_b128 v36, v[6:9] offset:2048
	;; [unrolled: 2-line block ×7, first 2 shown]
	; wave barrier
	ds_read_b128 v[14:17], v0
	ds_read_b128 v[10:13], v0 offset:16
	ds_read_b128 v[6:9], v0 offset:32
	;; [unrolled: 1-line block ×7, first 2 shown]
	s_add_i32 s2, s2, -1
	s_cmp_lg_u32 s2, 0
	s_waitcnt lgkmcnt(0)
	s_barrier
	s_cbranch_scc1 .LBB119_1
; %bb.2:
	s_load_dwordx2 s[2:3], s[4:5], 0x10
	v_lshlrev_b32_e32 v0, 4, v1
	s_waitcnt lgkmcnt(0)
	s_add_u32 s0, s2, s0
	s_addc_u32 s1, s3, s1
	global_store_dwordx4 v0, v[14:17], s[0:1]
	global_store_dwordx4 v0, v[10:13], s[0:1] offset:16
	global_store_dwordx4 v0, v[6:9], s[0:1] offset:32
	;; [unrolled: 1-line block ×7, first 2 shown]
	s_endpgm
	.section	.rodata,"a",@progbits
	.p2align	6, 0x0
	.amdhsa_kernel _Z6kernelI23warp_striped_to_blockedN15benchmark_utils11custom_typeIddEELj256ELj8ELj100EEvPKT0_PKjPS4_
		.amdhsa_group_segment_fixed_size 33792
		.amdhsa_private_segment_fixed_size 0
		.amdhsa_kernarg_size 24
		.amdhsa_user_sgpr_count 6
		.amdhsa_user_sgpr_private_segment_buffer 1
		.amdhsa_user_sgpr_dispatch_ptr 0
		.amdhsa_user_sgpr_queue_ptr 0
		.amdhsa_user_sgpr_kernarg_segment_ptr 1
		.amdhsa_user_sgpr_dispatch_id 0
		.amdhsa_user_sgpr_flat_scratch_init 0
		.amdhsa_user_sgpr_kernarg_preload_length 0
		.amdhsa_user_sgpr_kernarg_preload_offset 0
		.amdhsa_user_sgpr_private_segment_size 0
		.amdhsa_uses_dynamic_stack 0
		.amdhsa_system_sgpr_private_segment_wavefront_offset 0
		.amdhsa_system_sgpr_workgroup_id_x 1
		.amdhsa_system_sgpr_workgroup_id_y 0
		.amdhsa_system_sgpr_workgroup_id_z 0
		.amdhsa_system_sgpr_workgroup_info 0
		.amdhsa_system_vgpr_workitem_id 0
		.amdhsa_next_free_vgpr 44
		.amdhsa_next_free_sgpr 7
		.amdhsa_accum_offset 44
		.amdhsa_reserve_vcc 1
		.amdhsa_reserve_flat_scratch 0
		.amdhsa_float_round_mode_32 0
		.amdhsa_float_round_mode_16_64 0
		.amdhsa_float_denorm_mode_32 3
		.amdhsa_float_denorm_mode_16_64 3
		.amdhsa_dx10_clamp 1
		.amdhsa_ieee_mode 1
		.amdhsa_fp16_overflow 0
		.amdhsa_tg_split 0
		.amdhsa_exception_fp_ieee_invalid_op 0
		.amdhsa_exception_fp_denorm_src 0
		.amdhsa_exception_fp_ieee_div_zero 0
		.amdhsa_exception_fp_ieee_overflow 0
		.amdhsa_exception_fp_ieee_underflow 0
		.amdhsa_exception_fp_ieee_inexact 0
		.amdhsa_exception_int_div_zero 0
	.end_amdhsa_kernel
	.section	.text._Z6kernelI23warp_striped_to_blockedN15benchmark_utils11custom_typeIddEELj256ELj8ELj100EEvPKT0_PKjPS4_,"axG",@progbits,_Z6kernelI23warp_striped_to_blockedN15benchmark_utils11custom_typeIddEELj256ELj8ELj100EEvPKT0_PKjPS4_,comdat
.Lfunc_end119:
	.size	_Z6kernelI23warp_striped_to_blockedN15benchmark_utils11custom_typeIddEELj256ELj8ELj100EEvPKT0_PKjPS4_, .Lfunc_end119-_Z6kernelI23warp_striped_to_blockedN15benchmark_utils11custom_typeIddEELj256ELj8ELj100EEvPKT0_PKjPS4_
                                        ; -- End function
	.section	.AMDGPU.csdata,"",@progbits
; Kernel info:
; codeLenInByte = 664
; NumSgprs: 11
; NumVgprs: 44
; NumAgprs: 0
; TotalNumVgprs: 44
; ScratchSize: 0
; MemoryBound: 0
; FloatMode: 240
; IeeeMode: 1
; LDSByteSize: 33792 bytes/workgroup (compile time only)
; SGPRBlocks: 1
; VGPRBlocks: 5
; NumSGPRsForWavesPerEU: 11
; NumVGPRsForWavesPerEU: 44
; AccumOffset: 44
; Occupancy: 1
; WaveLimiterHint : 1
; COMPUTE_PGM_RSRC2:SCRATCH_EN: 0
; COMPUTE_PGM_RSRC2:USER_SGPR: 6
; COMPUTE_PGM_RSRC2:TRAP_HANDLER: 0
; COMPUTE_PGM_RSRC2:TGID_X_EN: 1
; COMPUTE_PGM_RSRC2:TGID_Y_EN: 0
; COMPUTE_PGM_RSRC2:TGID_Z_EN: 0
; COMPUTE_PGM_RSRC2:TIDIG_COMP_CNT: 0
; COMPUTE_PGM_RSRC3_GFX90A:ACCUM_OFFSET: 10
; COMPUTE_PGM_RSRC3_GFX90A:TG_SPLIT: 0
	.section	.text._Z6kernelI18scatter_to_blockediLj256ELj1ELj100EEvPKT0_PKjPS1_,"axG",@progbits,_Z6kernelI18scatter_to_blockediLj256ELj1ELj100EEvPKT0_PKjPS1_,comdat
	.protected	_Z6kernelI18scatter_to_blockediLj256ELj1ELj100EEvPKT0_PKjPS1_ ; -- Begin function _Z6kernelI18scatter_to_blockediLj256ELj1ELj100EEvPKT0_PKjPS1_
	.globl	_Z6kernelI18scatter_to_blockediLj256ELj1ELj100EEvPKT0_PKjPS1_
	.p2align	8
	.type	_Z6kernelI18scatter_to_blockediLj256ELj1ELj100EEvPKT0_PKjPS1_,@function
_Z6kernelI18scatter_to_blockediLj256ELj1ELj100EEvPKT0_PKjPS1_: ; @_Z6kernelI18scatter_to_blockediLj256ELj1ELj100EEvPKT0_PKjPS1_
; %bb.0:
	s_load_dwordx4 s[8:11], s[4:5], 0x0
	s_load_dwordx2 s[0:1], s[4:5], 0x10
	s_lshl_b32 s2, s6, 8
	s_mov_b32 s3, 0
	s_lshl_b64 s[2:3], s[2:3], 2
	s_waitcnt lgkmcnt(0)
	s_add_u32 s4, s8, s2
	s_addc_u32 s5, s9, s3
	s_add_u32 s6, s10, s2
	v_lshlrev_b32_e32 v1, 2, v0
	s_addc_u32 s7, s11, s3
	global_load_dword v3, v1, s[6:7]
	global_load_dword v2, v1, s[4:5]
	s_movk_i32 s4, 0x64
	s_waitcnt vmcnt(1)
	v_lshlrev_b32_e32 v3, 2, v3
.LBB120_1:                              ; =>This Inner Loop Header: Depth=1
	s_waitcnt vmcnt(0)
	ds_write_b32 v3, v2
	s_waitcnt lgkmcnt(0)
	s_barrier
	ds_read_b32 v2, v1
	s_add_i32 s4, s4, -1
	s_cmp_lg_u32 s4, 0
	s_waitcnt lgkmcnt(0)
	s_barrier
	s_cbranch_scc1 .LBB120_1
; %bb.2:
	s_add_u32 s0, s0, s2
	s_addc_u32 s1, s1, s3
	v_lshlrev_b32_e32 v0, 2, v0
	global_store_dword v0, v2, s[0:1]
	s_endpgm
	.section	.rodata,"a",@progbits
	.p2align	6, 0x0
	.amdhsa_kernel _Z6kernelI18scatter_to_blockediLj256ELj1ELj100EEvPKT0_PKjPS1_
		.amdhsa_group_segment_fixed_size 1024
		.amdhsa_private_segment_fixed_size 0
		.amdhsa_kernarg_size 24
		.amdhsa_user_sgpr_count 6
		.amdhsa_user_sgpr_private_segment_buffer 1
		.amdhsa_user_sgpr_dispatch_ptr 0
		.amdhsa_user_sgpr_queue_ptr 0
		.amdhsa_user_sgpr_kernarg_segment_ptr 1
		.amdhsa_user_sgpr_dispatch_id 0
		.amdhsa_user_sgpr_flat_scratch_init 0
		.amdhsa_user_sgpr_kernarg_preload_length 0
		.amdhsa_user_sgpr_kernarg_preload_offset 0
		.amdhsa_user_sgpr_private_segment_size 0
		.amdhsa_uses_dynamic_stack 0
		.amdhsa_system_sgpr_private_segment_wavefront_offset 0
		.amdhsa_system_sgpr_workgroup_id_x 1
		.amdhsa_system_sgpr_workgroup_id_y 0
		.amdhsa_system_sgpr_workgroup_id_z 0
		.amdhsa_system_sgpr_workgroup_info 0
		.amdhsa_system_vgpr_workitem_id 0
		.amdhsa_next_free_vgpr 4
		.amdhsa_next_free_sgpr 12
		.amdhsa_accum_offset 4
		.amdhsa_reserve_vcc 0
		.amdhsa_reserve_flat_scratch 0
		.amdhsa_float_round_mode_32 0
		.amdhsa_float_round_mode_16_64 0
		.amdhsa_float_denorm_mode_32 3
		.amdhsa_float_denorm_mode_16_64 3
		.amdhsa_dx10_clamp 1
		.amdhsa_ieee_mode 1
		.amdhsa_fp16_overflow 0
		.amdhsa_tg_split 0
		.amdhsa_exception_fp_ieee_invalid_op 0
		.amdhsa_exception_fp_denorm_src 0
		.amdhsa_exception_fp_ieee_div_zero 0
		.amdhsa_exception_fp_ieee_overflow 0
		.amdhsa_exception_fp_ieee_underflow 0
		.amdhsa_exception_fp_ieee_inexact 0
		.amdhsa_exception_int_div_zero 0
	.end_amdhsa_kernel
	.section	.text._Z6kernelI18scatter_to_blockediLj256ELj1ELj100EEvPKT0_PKjPS1_,"axG",@progbits,_Z6kernelI18scatter_to_blockediLj256ELj1ELj100EEvPKT0_PKjPS1_,comdat
.Lfunc_end120:
	.size	_Z6kernelI18scatter_to_blockediLj256ELj1ELj100EEvPKT0_PKjPS1_, .Lfunc_end120-_Z6kernelI18scatter_to_blockediLj256ELj1ELj100EEvPKT0_PKjPS1_
                                        ; -- End function
	.section	.AMDGPU.csdata,"",@progbits
; Kernel info:
; codeLenInByte = 152
; NumSgprs: 16
; NumVgprs: 4
; NumAgprs: 0
; TotalNumVgprs: 4
; ScratchSize: 0
; MemoryBound: 0
; FloatMode: 240
; IeeeMode: 1
; LDSByteSize: 1024 bytes/workgroup (compile time only)
; SGPRBlocks: 1
; VGPRBlocks: 0
; NumSGPRsForWavesPerEU: 16
; NumVGPRsForWavesPerEU: 4
; AccumOffset: 4
; Occupancy: 8
; WaveLimiterHint : 0
; COMPUTE_PGM_RSRC2:SCRATCH_EN: 0
; COMPUTE_PGM_RSRC2:USER_SGPR: 6
; COMPUTE_PGM_RSRC2:TRAP_HANDLER: 0
; COMPUTE_PGM_RSRC2:TGID_X_EN: 1
; COMPUTE_PGM_RSRC2:TGID_Y_EN: 0
; COMPUTE_PGM_RSRC2:TGID_Z_EN: 0
; COMPUTE_PGM_RSRC2:TIDIG_COMP_CNT: 0
; COMPUTE_PGM_RSRC3_GFX90A:ACCUM_OFFSET: 0
; COMPUTE_PGM_RSRC3_GFX90A:TG_SPLIT: 0
	.section	.text._Z6kernelI18scatter_to_blockediLj256ELj2ELj100EEvPKT0_PKjPS1_,"axG",@progbits,_Z6kernelI18scatter_to_blockediLj256ELj2ELj100EEvPKT0_PKjPS1_,comdat
	.protected	_Z6kernelI18scatter_to_blockediLj256ELj2ELj100EEvPKT0_PKjPS1_ ; -- Begin function _Z6kernelI18scatter_to_blockediLj256ELj2ELj100EEvPKT0_PKjPS1_
	.globl	_Z6kernelI18scatter_to_blockediLj256ELj2ELj100EEvPKT0_PKjPS1_
	.p2align	8
	.type	_Z6kernelI18scatter_to_blockediLj256ELj2ELj100EEvPKT0_PKjPS1_,@function
_Z6kernelI18scatter_to_blockediLj256ELj2ELj100EEvPKT0_PKjPS1_: ; @_Z6kernelI18scatter_to_blockediLj256ELj2ELj100EEvPKT0_PKjPS1_
; %bb.0:
	s_load_dwordx4 s[8:11], s[4:5], 0x0
	s_load_dwordx2 s[0:1], s[4:5], 0x10
	s_lshl_b32 s2, s6, 9
	s_mov_b32 s3, 0
	s_lshl_b64 s[2:3], s[2:3], 2
	s_waitcnt lgkmcnt(0)
	s_add_u32 s4, s8, s2
	s_addc_u32 s5, s9, s3
	s_add_u32 s6, s10, s2
	v_lshlrev_b32_e32 v1, 2, v0
	s_addc_u32 s7, s11, s3
	global_load_dword v4, v1, s[6:7]
	global_load_dword v5, v1, s[6:7] offset:1024
	global_load_dword v2, v1, s[4:5]
	global_load_dword v3, v1, s[4:5] offset:1024
	v_lshlrev_b32_e32 v1, 1, v0
	v_lshrrev_b32_e32 v0, 4, v0
	v_add_lshl_u32 v0, v0, v1, 2
	s_movk_i32 s4, 0x64
	s_waitcnt vmcnt(3)
	v_lshrrev_b32_e32 v6, 3, v4
	s_waitcnt vmcnt(2)
	v_lshrrev_b32_e32 v7, 3, v5
	v_and_b32_e32 v6, 0x1ffffffc, v6
	v_and_b32_e32 v7, 0x1ffffffc, v7
	v_lshl_add_u32 v4, v4, 2, v6
	v_lshl_add_u32 v5, v5, 2, v7
.LBB121_1:                              ; =>This Inner Loop Header: Depth=1
	s_waitcnt vmcnt(1)
	ds_write_b32 v4, v2
	s_waitcnt vmcnt(0)
	ds_write_b32 v5, v3
	s_waitcnt lgkmcnt(0)
	s_barrier
	ds_read2_b32 v[2:3], v0 offset1:1
	s_add_i32 s4, s4, -1
	s_cmp_lg_u32 s4, 0
	s_waitcnt lgkmcnt(0)
	s_barrier
	s_cbranch_scc1 .LBB121_1
; %bb.2:
	s_add_u32 s0, s0, s2
	s_addc_u32 s1, s1, s3
	v_lshlrev_b32_e32 v0, 2, v1
	global_store_dwordx2 v0, v[2:3], s[0:1]
	s_endpgm
	.section	.rodata,"a",@progbits
	.p2align	6, 0x0
	.amdhsa_kernel _Z6kernelI18scatter_to_blockediLj256ELj2ELj100EEvPKT0_PKjPS1_
		.amdhsa_group_segment_fixed_size 2112
		.amdhsa_private_segment_fixed_size 0
		.amdhsa_kernarg_size 24
		.amdhsa_user_sgpr_count 6
		.amdhsa_user_sgpr_private_segment_buffer 1
		.amdhsa_user_sgpr_dispatch_ptr 0
		.amdhsa_user_sgpr_queue_ptr 0
		.amdhsa_user_sgpr_kernarg_segment_ptr 1
		.amdhsa_user_sgpr_dispatch_id 0
		.amdhsa_user_sgpr_flat_scratch_init 0
		.amdhsa_user_sgpr_kernarg_preload_length 0
		.amdhsa_user_sgpr_kernarg_preload_offset 0
		.amdhsa_user_sgpr_private_segment_size 0
		.amdhsa_uses_dynamic_stack 0
		.amdhsa_system_sgpr_private_segment_wavefront_offset 0
		.amdhsa_system_sgpr_workgroup_id_x 1
		.amdhsa_system_sgpr_workgroup_id_y 0
		.amdhsa_system_sgpr_workgroup_id_z 0
		.amdhsa_system_sgpr_workgroup_info 0
		.amdhsa_system_vgpr_workitem_id 0
		.amdhsa_next_free_vgpr 8
		.amdhsa_next_free_sgpr 12
		.amdhsa_accum_offset 8
		.amdhsa_reserve_vcc 0
		.amdhsa_reserve_flat_scratch 0
		.amdhsa_float_round_mode_32 0
		.amdhsa_float_round_mode_16_64 0
		.amdhsa_float_denorm_mode_32 3
		.amdhsa_float_denorm_mode_16_64 3
		.amdhsa_dx10_clamp 1
		.amdhsa_ieee_mode 1
		.amdhsa_fp16_overflow 0
		.amdhsa_tg_split 0
		.amdhsa_exception_fp_ieee_invalid_op 0
		.amdhsa_exception_fp_denorm_src 0
		.amdhsa_exception_fp_ieee_div_zero 0
		.amdhsa_exception_fp_ieee_overflow 0
		.amdhsa_exception_fp_ieee_underflow 0
		.amdhsa_exception_fp_ieee_inexact 0
		.amdhsa_exception_int_div_zero 0
	.end_amdhsa_kernel
	.section	.text._Z6kernelI18scatter_to_blockediLj256ELj2ELj100EEvPKT0_PKjPS1_,"axG",@progbits,_Z6kernelI18scatter_to_blockediLj256ELj2ELj100EEvPKT0_PKjPS1_,comdat
.Lfunc_end121:
	.size	_Z6kernelI18scatter_to_blockediLj256ELj2ELj100EEvPKT0_PKjPS1_, .Lfunc_end121-_Z6kernelI18scatter_to_blockediLj256ELj2ELj100EEvPKT0_PKjPS1_
                                        ; -- End function
	.section	.AMDGPU.csdata,"",@progbits
; Kernel info:
; codeLenInByte = 236
; NumSgprs: 16
; NumVgprs: 8
; NumAgprs: 0
; TotalNumVgprs: 8
; ScratchSize: 0
; MemoryBound: 0
; FloatMode: 240
; IeeeMode: 1
; LDSByteSize: 2112 bytes/workgroup (compile time only)
; SGPRBlocks: 1
; VGPRBlocks: 0
; NumSGPRsForWavesPerEU: 16
; NumVGPRsForWavesPerEU: 8
; AccumOffset: 8
; Occupancy: 8
; WaveLimiterHint : 1
; COMPUTE_PGM_RSRC2:SCRATCH_EN: 0
; COMPUTE_PGM_RSRC2:USER_SGPR: 6
; COMPUTE_PGM_RSRC2:TRAP_HANDLER: 0
; COMPUTE_PGM_RSRC2:TGID_X_EN: 1
; COMPUTE_PGM_RSRC2:TGID_Y_EN: 0
; COMPUTE_PGM_RSRC2:TGID_Z_EN: 0
; COMPUTE_PGM_RSRC2:TIDIG_COMP_CNT: 0
; COMPUTE_PGM_RSRC3_GFX90A:ACCUM_OFFSET: 1
; COMPUTE_PGM_RSRC3_GFX90A:TG_SPLIT: 0
	.section	.text._Z6kernelI18scatter_to_blockediLj256ELj3ELj100EEvPKT0_PKjPS1_,"axG",@progbits,_Z6kernelI18scatter_to_blockediLj256ELj3ELj100EEvPKT0_PKjPS1_,comdat
	.protected	_Z6kernelI18scatter_to_blockediLj256ELj3ELj100EEvPKT0_PKjPS1_ ; -- Begin function _Z6kernelI18scatter_to_blockediLj256ELj3ELj100EEvPKT0_PKjPS1_
	.globl	_Z6kernelI18scatter_to_blockediLj256ELj3ELj100EEvPKT0_PKjPS1_
	.p2align	8
	.type	_Z6kernelI18scatter_to_blockediLj256ELj3ELj100EEvPKT0_PKjPS1_,@function
_Z6kernelI18scatter_to_blockediLj256ELj3ELj100EEvPKT0_PKjPS1_: ; @_Z6kernelI18scatter_to_blockediLj256ELj3ELj100EEvPKT0_PKjPS1_
; %bb.0:
	s_load_dwordx4 s[8:11], s[4:5], 0x0
	s_load_dwordx2 s[0:1], s[4:5], 0x10
	s_mul_i32 s2, s6, 0x300
	s_mov_b32 s3, 0
	s_lshl_b64 s[2:3], s[2:3], 2
	s_waitcnt lgkmcnt(0)
	s_add_u32 s4, s8, s2
	s_addc_u32 s5, s9, s3
	s_add_u32 s6, s10, s2
	v_lshlrev_b32_e32 v1, 2, v0
	s_addc_u32 s7, s11, s3
	global_load_dword v5, v1, s[6:7]
	global_load_dword v6, v1, s[6:7] offset:1024
	global_load_dword v7, v1, s[6:7] offset:2048
	global_load_dword v2, v1, s[4:5]
	global_load_dword v3, v1, s[4:5] offset:1024
	global_load_dword v4, v1, s[4:5] offset:2048
	v_mul_u32_u24_e32 v0, 3, v0
	v_lshlrev_b32_e32 v0, 2, v0
	s_movk_i32 s4, 0x64
	s_waitcnt vmcnt(5)
	v_lshlrev_b32_e32 v1, 2, v5
	s_waitcnt vmcnt(4)
	v_lshlrev_b32_e32 v5, 2, v6
	;; [unrolled: 2-line block ×3, first 2 shown]
.LBB122_1:                              ; =>This Inner Loop Header: Depth=1
	s_waitcnt vmcnt(2)
	ds_write_b32 v1, v2
	s_waitcnt vmcnt(1)
	ds_write_b32 v5, v3
	;; [unrolled: 2-line block ×3, first 2 shown]
	s_waitcnt lgkmcnt(0)
	s_barrier
	ds_read2_b32 v[2:3], v0 offset1:1
	ds_read_b32 v4, v0 offset:8
	s_add_i32 s4, s4, -1
	s_cmp_lg_u32 s4, 0
	s_waitcnt lgkmcnt(0)
	s_barrier
	s_cbranch_scc1 .LBB122_1
; %bb.2:
	s_add_u32 s0, s0, s2
	s_addc_u32 s1, s1, s3
	global_store_dwordx3 v0, v[2:4], s[0:1]
	s_endpgm
	.section	.rodata,"a",@progbits
	.p2align	6, 0x0
	.amdhsa_kernel _Z6kernelI18scatter_to_blockediLj256ELj3ELj100EEvPKT0_PKjPS1_
		.amdhsa_group_segment_fixed_size 3072
		.amdhsa_private_segment_fixed_size 0
		.amdhsa_kernarg_size 24
		.amdhsa_user_sgpr_count 6
		.amdhsa_user_sgpr_private_segment_buffer 1
		.amdhsa_user_sgpr_dispatch_ptr 0
		.amdhsa_user_sgpr_queue_ptr 0
		.amdhsa_user_sgpr_kernarg_segment_ptr 1
		.amdhsa_user_sgpr_dispatch_id 0
		.amdhsa_user_sgpr_flat_scratch_init 0
		.amdhsa_user_sgpr_kernarg_preload_length 0
		.amdhsa_user_sgpr_kernarg_preload_offset 0
		.amdhsa_user_sgpr_private_segment_size 0
		.amdhsa_uses_dynamic_stack 0
		.amdhsa_system_sgpr_private_segment_wavefront_offset 0
		.amdhsa_system_sgpr_workgroup_id_x 1
		.amdhsa_system_sgpr_workgroup_id_y 0
		.amdhsa_system_sgpr_workgroup_id_z 0
		.amdhsa_system_sgpr_workgroup_info 0
		.amdhsa_system_vgpr_workitem_id 0
		.amdhsa_next_free_vgpr 8
		.amdhsa_next_free_sgpr 12
		.amdhsa_accum_offset 8
		.amdhsa_reserve_vcc 0
		.amdhsa_reserve_flat_scratch 0
		.amdhsa_float_round_mode_32 0
		.amdhsa_float_round_mode_16_64 0
		.amdhsa_float_denorm_mode_32 3
		.amdhsa_float_denorm_mode_16_64 3
		.amdhsa_dx10_clamp 1
		.amdhsa_ieee_mode 1
		.amdhsa_fp16_overflow 0
		.amdhsa_tg_split 0
		.amdhsa_exception_fp_ieee_invalid_op 0
		.amdhsa_exception_fp_denorm_src 0
		.amdhsa_exception_fp_ieee_div_zero 0
		.amdhsa_exception_fp_ieee_overflow 0
		.amdhsa_exception_fp_ieee_underflow 0
		.amdhsa_exception_fp_ieee_inexact 0
		.amdhsa_exception_int_div_zero 0
	.end_amdhsa_kernel
	.section	.text._Z6kernelI18scatter_to_blockediLj256ELj3ELj100EEvPKT0_PKjPS1_,"axG",@progbits,_Z6kernelI18scatter_to_blockediLj256ELj3ELj100EEvPKT0_PKjPS1_,comdat
.Lfunc_end122:
	.size	_Z6kernelI18scatter_to_blockediLj256ELj3ELj100EEvPKT0_PKjPS1_, .Lfunc_end122-_Z6kernelI18scatter_to_blockediLj256ELj3ELj100EEvPKT0_PKjPS1_
                                        ; -- End function
	.section	.AMDGPU.csdata,"",@progbits
; Kernel info:
; codeLenInByte = 240
; NumSgprs: 16
; NumVgprs: 8
; NumAgprs: 0
; TotalNumVgprs: 8
; ScratchSize: 0
; MemoryBound: 0
; FloatMode: 240
; IeeeMode: 1
; LDSByteSize: 3072 bytes/workgroup (compile time only)
; SGPRBlocks: 1
; VGPRBlocks: 0
; NumSGPRsForWavesPerEU: 16
; NumVGPRsForWavesPerEU: 8
; AccumOffset: 8
; Occupancy: 8
; WaveLimiterHint : 1
; COMPUTE_PGM_RSRC2:SCRATCH_EN: 0
; COMPUTE_PGM_RSRC2:USER_SGPR: 6
; COMPUTE_PGM_RSRC2:TRAP_HANDLER: 0
; COMPUTE_PGM_RSRC2:TGID_X_EN: 1
; COMPUTE_PGM_RSRC2:TGID_Y_EN: 0
; COMPUTE_PGM_RSRC2:TGID_Z_EN: 0
; COMPUTE_PGM_RSRC2:TIDIG_COMP_CNT: 0
; COMPUTE_PGM_RSRC3_GFX90A:ACCUM_OFFSET: 1
; COMPUTE_PGM_RSRC3_GFX90A:TG_SPLIT: 0
	.section	.text._Z6kernelI18scatter_to_blockediLj256ELj4ELj100EEvPKT0_PKjPS1_,"axG",@progbits,_Z6kernelI18scatter_to_blockediLj256ELj4ELj100EEvPKT0_PKjPS1_,comdat
	.protected	_Z6kernelI18scatter_to_blockediLj256ELj4ELj100EEvPKT0_PKjPS1_ ; -- Begin function _Z6kernelI18scatter_to_blockediLj256ELj4ELj100EEvPKT0_PKjPS1_
	.globl	_Z6kernelI18scatter_to_blockediLj256ELj4ELj100EEvPKT0_PKjPS1_
	.p2align	8
	.type	_Z6kernelI18scatter_to_blockediLj256ELj4ELj100EEvPKT0_PKjPS1_,@function
_Z6kernelI18scatter_to_blockediLj256ELj4ELj100EEvPKT0_PKjPS1_: ; @_Z6kernelI18scatter_to_blockediLj256ELj4ELj100EEvPKT0_PKjPS1_
; %bb.0:
	s_load_dwordx4 s[8:11], s[4:5], 0x0
	s_load_dwordx2 s[0:1], s[4:5], 0x10
	s_lshl_b32 s2, s6, 10
	s_mov_b32 s3, 0
	s_lshl_b64 s[2:3], s[2:3], 2
	s_waitcnt lgkmcnt(0)
	s_add_u32 s4, s8, s2
	s_addc_u32 s5, s9, s3
	s_add_u32 s6, s10, s2
	v_lshlrev_b32_e32 v1, 2, v0
	s_addc_u32 s7, s11, s3
	global_load_dword v6, v1, s[6:7]
	global_load_dword v7, v1, s[6:7] offset:1024
	global_load_dword v8, v1, s[6:7] offset:2048
	;; [unrolled: 1-line block ×3, first 2 shown]
	global_load_dword v2, v1, s[4:5]
	global_load_dword v3, v1, s[4:5] offset:1024
	global_load_dword v4, v1, s[4:5] offset:2048
	;; [unrolled: 1-line block ×3, first 2 shown]
	v_lshrrev_b32_e32 v0, 3, v0
	v_add_lshl_u32 v0, v0, v1, 2
	s_movk_i32 s4, 0x64
	s_waitcnt vmcnt(7)
	v_lshrrev_b32_e32 v10, 3, v6
	s_waitcnt vmcnt(6)
	v_lshrrev_b32_e32 v11, 3, v7
	;; [unrolled: 2-line block ×4, first 2 shown]
	v_and_b32_e32 v10, 0x1ffffffc, v10
	v_and_b32_e32 v11, 0x1ffffffc, v11
	;; [unrolled: 1-line block ×4, first 2 shown]
	v_lshl_add_u32 v6, v6, 2, v10
	v_lshl_add_u32 v7, v7, 2, v11
	v_lshl_add_u32 v8, v8, 2, v12
	v_lshl_add_u32 v9, v9, 2, v13
.LBB123_1:                              ; =>This Inner Loop Header: Depth=1
	s_waitcnt vmcnt(3)
	ds_write_b32 v6, v2
	s_waitcnt vmcnt(2)
	ds_write_b32 v7, v3
	;; [unrolled: 2-line block ×4, first 2 shown]
	s_waitcnt lgkmcnt(0)
	s_barrier
	ds_read2_b32 v[2:3], v0 offset1:1
	ds_read2_b32 v[4:5], v0 offset0:2 offset1:3
	s_add_i32 s4, s4, -1
	s_cmp_lg_u32 s4, 0
	s_waitcnt lgkmcnt(0)
	s_barrier
	s_cbranch_scc1 .LBB123_1
; %bb.2:
	s_add_u32 s0, s0, s2
	s_addc_u32 s1, s1, s3
	v_lshlrev_b32_e32 v0, 2, v1
	global_store_dwordx4 v0, v[2:5], s[0:1]
	s_endpgm
	.section	.rodata,"a",@progbits
	.p2align	6, 0x0
	.amdhsa_kernel _Z6kernelI18scatter_to_blockediLj256ELj4ELj100EEvPKT0_PKjPS1_
		.amdhsa_group_segment_fixed_size 4224
		.amdhsa_private_segment_fixed_size 0
		.amdhsa_kernarg_size 24
		.amdhsa_user_sgpr_count 6
		.amdhsa_user_sgpr_private_segment_buffer 1
		.amdhsa_user_sgpr_dispatch_ptr 0
		.amdhsa_user_sgpr_queue_ptr 0
		.amdhsa_user_sgpr_kernarg_segment_ptr 1
		.amdhsa_user_sgpr_dispatch_id 0
		.amdhsa_user_sgpr_flat_scratch_init 0
		.amdhsa_user_sgpr_kernarg_preload_length 0
		.amdhsa_user_sgpr_kernarg_preload_offset 0
		.amdhsa_user_sgpr_private_segment_size 0
		.amdhsa_uses_dynamic_stack 0
		.amdhsa_system_sgpr_private_segment_wavefront_offset 0
		.amdhsa_system_sgpr_workgroup_id_x 1
		.amdhsa_system_sgpr_workgroup_id_y 0
		.amdhsa_system_sgpr_workgroup_id_z 0
		.amdhsa_system_sgpr_workgroup_info 0
		.amdhsa_system_vgpr_workitem_id 0
		.amdhsa_next_free_vgpr 14
		.amdhsa_next_free_sgpr 12
		.amdhsa_accum_offset 16
		.amdhsa_reserve_vcc 0
		.amdhsa_reserve_flat_scratch 0
		.amdhsa_float_round_mode_32 0
		.amdhsa_float_round_mode_16_64 0
		.amdhsa_float_denorm_mode_32 3
		.amdhsa_float_denorm_mode_16_64 3
		.amdhsa_dx10_clamp 1
		.amdhsa_ieee_mode 1
		.amdhsa_fp16_overflow 0
		.amdhsa_tg_split 0
		.amdhsa_exception_fp_ieee_invalid_op 0
		.amdhsa_exception_fp_denorm_src 0
		.amdhsa_exception_fp_ieee_div_zero 0
		.amdhsa_exception_fp_ieee_overflow 0
		.amdhsa_exception_fp_ieee_underflow 0
		.amdhsa_exception_fp_ieee_inexact 0
		.amdhsa_exception_int_div_zero 0
	.end_amdhsa_kernel
	.section	.text._Z6kernelI18scatter_to_blockediLj256ELj4ELj100EEvPKT0_PKjPS1_,"axG",@progbits,_Z6kernelI18scatter_to_blockediLj256ELj4ELj100EEvPKT0_PKjPS1_,comdat
.Lfunc_end123:
	.size	_Z6kernelI18scatter_to_blockediLj256ELj4ELj100EEvPKT0_PKjPS1_, .Lfunc_end123-_Z6kernelI18scatter_to_blockediLj256ELj4ELj100EEvPKT0_PKjPS1_
                                        ; -- End function
	.section	.AMDGPU.csdata,"",@progbits
; Kernel info:
; codeLenInByte = 344
; NumSgprs: 16
; NumVgprs: 14
; NumAgprs: 0
; TotalNumVgprs: 14
; ScratchSize: 0
; MemoryBound: 0
; FloatMode: 240
; IeeeMode: 1
; LDSByteSize: 4224 bytes/workgroup (compile time only)
; SGPRBlocks: 1
; VGPRBlocks: 1
; NumSGPRsForWavesPerEU: 16
; NumVGPRsForWavesPerEU: 14
; AccumOffset: 16
; Occupancy: 8
; WaveLimiterHint : 1
; COMPUTE_PGM_RSRC2:SCRATCH_EN: 0
; COMPUTE_PGM_RSRC2:USER_SGPR: 6
; COMPUTE_PGM_RSRC2:TRAP_HANDLER: 0
; COMPUTE_PGM_RSRC2:TGID_X_EN: 1
; COMPUTE_PGM_RSRC2:TGID_Y_EN: 0
; COMPUTE_PGM_RSRC2:TGID_Z_EN: 0
; COMPUTE_PGM_RSRC2:TIDIG_COMP_CNT: 0
; COMPUTE_PGM_RSRC3_GFX90A:ACCUM_OFFSET: 3
; COMPUTE_PGM_RSRC3_GFX90A:TG_SPLIT: 0
	.section	.text._Z6kernelI18scatter_to_blockediLj256ELj7ELj100EEvPKT0_PKjPS1_,"axG",@progbits,_Z6kernelI18scatter_to_blockediLj256ELj7ELj100EEvPKT0_PKjPS1_,comdat
	.protected	_Z6kernelI18scatter_to_blockediLj256ELj7ELj100EEvPKT0_PKjPS1_ ; -- Begin function _Z6kernelI18scatter_to_blockediLj256ELj7ELj100EEvPKT0_PKjPS1_
	.globl	_Z6kernelI18scatter_to_blockediLj256ELj7ELj100EEvPKT0_PKjPS1_
	.p2align	8
	.type	_Z6kernelI18scatter_to_blockediLj256ELj7ELj100EEvPKT0_PKjPS1_,@function
_Z6kernelI18scatter_to_blockediLj256ELj7ELj100EEvPKT0_PKjPS1_: ; @_Z6kernelI18scatter_to_blockediLj256ELj7ELj100EEvPKT0_PKjPS1_
; %bb.0:
	s_load_dwordx4 s[8:11], s[4:5], 0x0
	s_load_dwordx2 s[0:1], s[4:5], 0x10
	s_mul_i32 s2, s6, 0x700
	s_mov_b32 s3, 0
	s_lshl_b64 s[2:3], s[2:3], 2
	s_waitcnt lgkmcnt(0)
	s_add_u32 s4, s8, s2
	s_addc_u32 s5, s9, s3
	v_lshlrev_b32_e32 v1, 2, v0
	v_mov_b32_e32 v2, s5
	v_add_co_u32_e32 v3, vcc, s4, v1
	v_addc_co_u32_e32 v2, vcc, 0, v2, vcc
	s_movk_i32 s8, 0x1000
	v_add_co_u32_e32 v10, vcc, s8, v3
	s_add_u32 s6, s10, s2
	v_addc_co_u32_e32 v11, vcc, 0, v2, vcc
	s_addc_u32 s7, s11, s3
	v_mov_b32_e32 v2, s7
	v_add_co_u32_e32 v6, vcc, s6, v1
	v_addc_co_u32_e32 v7, vcc, 0, v2, vcc
	global_load_dword v2, v1, s[4:5]
	global_load_dword v3, v1, s[4:5] offset:1024
	global_load_dword v4, v1, s[4:5] offset:2048
	;; [unrolled: 1-line block ×3, first 2 shown]
	global_load_dword v9, v1, s[6:7]
	global_load_dword v14, v1, s[6:7] offset:1024
	global_load_dword v15, v1, s[6:7] offset:2048
	;; [unrolled: 1-line block ×3, first 2 shown]
	v_add_co_u32_e32 v12, vcc, s8, v6
	v_addc_co_u32_e32 v13, vcc, 0, v7, vcc
	global_load_dword v17, v[12:13], off
	global_load_dword v18, v[12:13], off offset:1024
	global_load_dword v19, v[12:13], off offset:2048
	global_load_dword v6, v[10:11], off
	global_load_dword v7, v[10:11], off offset:1024
	global_load_dword v8, v[10:11], off offset:2048
	v_mul_u32_u24_e32 v0, 7, v0
	v_lshlrev_b32_e32 v0, 2, v0
	s_movk_i32 s4, 0x64
	s_waitcnt vmcnt(9)
	v_lshlrev_b32_e32 v1, 2, v9
	s_waitcnt vmcnt(8)
	v_lshlrev_b32_e32 v9, 2, v14
	;; [unrolled: 2-line block ×7, first 2 shown]
.LBB124_1:                              ; =>This Inner Loop Header: Depth=1
	ds_write_b32 v1, v2
	ds_write_b32 v9, v3
	;; [unrolled: 1-line block ×4, first 2 shown]
	s_waitcnt vmcnt(2)
	ds_write_b32 v12, v6
	s_waitcnt vmcnt(1)
	ds_write_b32 v13, v7
	;; [unrolled: 2-line block ×3, first 2 shown]
	s_waitcnt lgkmcnt(0)
	s_barrier
	ds_read2_b32 v[2:3], v0 offset1:1
	ds_read2_b32 v[4:5], v0 offset0:2 offset1:3
	ds_read2_b32 v[6:7], v0 offset0:4 offset1:5
	ds_read_b32 v8, v0 offset:24
	s_add_i32 s4, s4, -1
	s_cmp_lg_u32 s4, 0
	s_waitcnt lgkmcnt(0)
	s_barrier
	s_cbranch_scc1 .LBB124_1
; %bb.2:
	s_add_u32 s0, s0, s2
	s_addc_u32 s1, s1, s3
	global_store_dwordx4 v0, v[2:5], s[0:1]
	global_store_dwordx3 v0, v[6:8], s[0:1] offset:16
	s_endpgm
	.section	.rodata,"a",@progbits
	.p2align	6, 0x0
	.amdhsa_kernel _Z6kernelI18scatter_to_blockediLj256ELj7ELj100EEvPKT0_PKjPS1_
		.amdhsa_group_segment_fixed_size 7168
		.amdhsa_private_segment_fixed_size 0
		.amdhsa_kernarg_size 24
		.amdhsa_user_sgpr_count 6
		.amdhsa_user_sgpr_private_segment_buffer 1
		.amdhsa_user_sgpr_dispatch_ptr 0
		.amdhsa_user_sgpr_queue_ptr 0
		.amdhsa_user_sgpr_kernarg_segment_ptr 1
		.amdhsa_user_sgpr_dispatch_id 0
		.amdhsa_user_sgpr_flat_scratch_init 0
		.amdhsa_user_sgpr_kernarg_preload_length 0
		.amdhsa_user_sgpr_kernarg_preload_offset 0
		.amdhsa_user_sgpr_private_segment_size 0
		.amdhsa_uses_dynamic_stack 0
		.amdhsa_system_sgpr_private_segment_wavefront_offset 0
		.amdhsa_system_sgpr_workgroup_id_x 1
		.amdhsa_system_sgpr_workgroup_id_y 0
		.amdhsa_system_sgpr_workgroup_id_z 0
		.amdhsa_system_sgpr_workgroup_info 0
		.amdhsa_system_vgpr_workitem_id 0
		.amdhsa_next_free_vgpr 20
		.amdhsa_next_free_sgpr 12
		.amdhsa_accum_offset 20
		.amdhsa_reserve_vcc 1
		.amdhsa_reserve_flat_scratch 0
		.amdhsa_float_round_mode_32 0
		.amdhsa_float_round_mode_16_64 0
		.amdhsa_float_denorm_mode_32 3
		.amdhsa_float_denorm_mode_16_64 3
		.amdhsa_dx10_clamp 1
		.amdhsa_ieee_mode 1
		.amdhsa_fp16_overflow 0
		.amdhsa_tg_split 0
		.amdhsa_exception_fp_ieee_invalid_op 0
		.amdhsa_exception_fp_denorm_src 0
		.amdhsa_exception_fp_ieee_div_zero 0
		.amdhsa_exception_fp_ieee_overflow 0
		.amdhsa_exception_fp_ieee_underflow 0
		.amdhsa_exception_fp_ieee_inexact 0
		.amdhsa_exception_int_div_zero 0
	.end_amdhsa_kernel
	.section	.text._Z6kernelI18scatter_to_blockediLj256ELj7ELj100EEvPKT0_PKjPS1_,"axG",@progbits,_Z6kernelI18scatter_to_blockediLj256ELj7ELj100EEvPKT0_PKjPS1_,comdat
.Lfunc_end124:
	.size	_Z6kernelI18scatter_to_blockediLj256ELj7ELj100EEvPKT0_PKjPS1_, .Lfunc_end124-_Z6kernelI18scatter_to_blockediLj256ELj7ELj100EEvPKT0_PKjPS1_
                                        ; -- End function
	.section	.AMDGPU.csdata,"",@progbits
; Kernel info:
; codeLenInByte = 436
; NumSgprs: 16
; NumVgprs: 20
; NumAgprs: 0
; TotalNumVgprs: 20
; ScratchSize: 0
; MemoryBound: 0
; FloatMode: 240
; IeeeMode: 1
; LDSByteSize: 7168 bytes/workgroup (compile time only)
; SGPRBlocks: 1
; VGPRBlocks: 2
; NumSGPRsForWavesPerEU: 16
; NumVGPRsForWavesPerEU: 20
; AccumOffset: 20
; Occupancy: 8
; WaveLimiterHint : 1
; COMPUTE_PGM_RSRC2:SCRATCH_EN: 0
; COMPUTE_PGM_RSRC2:USER_SGPR: 6
; COMPUTE_PGM_RSRC2:TRAP_HANDLER: 0
; COMPUTE_PGM_RSRC2:TGID_X_EN: 1
; COMPUTE_PGM_RSRC2:TGID_Y_EN: 0
; COMPUTE_PGM_RSRC2:TGID_Z_EN: 0
; COMPUTE_PGM_RSRC2:TIDIG_COMP_CNT: 0
; COMPUTE_PGM_RSRC3_GFX90A:ACCUM_OFFSET: 4
; COMPUTE_PGM_RSRC3_GFX90A:TG_SPLIT: 0
	.section	.text._Z6kernelI18scatter_to_blockediLj256ELj8ELj100EEvPKT0_PKjPS1_,"axG",@progbits,_Z6kernelI18scatter_to_blockediLj256ELj8ELj100EEvPKT0_PKjPS1_,comdat
	.protected	_Z6kernelI18scatter_to_blockediLj256ELj8ELj100EEvPKT0_PKjPS1_ ; -- Begin function _Z6kernelI18scatter_to_blockediLj256ELj8ELj100EEvPKT0_PKjPS1_
	.globl	_Z6kernelI18scatter_to_blockediLj256ELj8ELj100EEvPKT0_PKjPS1_
	.p2align	8
	.type	_Z6kernelI18scatter_to_blockediLj256ELj8ELj100EEvPKT0_PKjPS1_,@function
_Z6kernelI18scatter_to_blockediLj256ELj8ELj100EEvPKT0_PKjPS1_: ; @_Z6kernelI18scatter_to_blockediLj256ELj8ELj100EEvPKT0_PKjPS1_
; %bb.0:
	s_load_dwordx4 s[8:11], s[4:5], 0x0
	s_load_dwordx2 s[0:1], s[4:5], 0x10
	s_lshl_b32 s2, s6, 11
	s_mov_b32 s3, 0
	s_lshl_b64 s[2:3], s[2:3], 2
	s_waitcnt lgkmcnt(0)
	s_add_u32 s4, s8, s2
	s_addc_u32 s5, s9, s3
	s_add_u32 s6, s10, s2
	v_lshlrev_b32_e32 v1, 2, v0
	s_addc_u32 s7, s11, s3
	v_mov_b32_e32 v6, s7
	v_add_co_u32_e32 v7, vcc, s6, v1
	s_movk_i32 s8, 0x1000
	v_addc_co_u32_e32 v9, vcc, 0, v6, vcc
	v_add_co_u32_e32 v6, vcc, s8, v7
	v_addc_co_u32_e32 v7, vcc, 0, v9, vcc
	v_mov_b32_e32 v8, s5
	global_load_dword v2, v1, s[4:5]
	global_load_dword v3, v1, s[4:5] offset:1024
	global_load_dword v4, v1, s[4:5] offset:2048
	;; [unrolled: 1-line block ×3, first 2 shown]
	global_load_dword v12, v1, s[6:7]
	global_load_dword v13, v1, s[6:7] offset:1024
	global_load_dword v14, v1, s[6:7] offset:2048
	;; [unrolled: 1-line block ×3, first 2 shown]
	v_add_co_u32_e32 v1, vcc, s4, v1
	global_load_dword v16, v[6:7], off
	global_load_dword v17, v[6:7], off offset:1024
	global_load_dword v18, v[6:7], off offset:2048
	;; [unrolled: 1-line block ×3, first 2 shown]
	v_addc_co_u32_e32 v6, vcc, 0, v8, vcc
	v_add_co_u32_e32 v10, vcc, s8, v1
	v_addc_co_u32_e32 v11, vcc, 0, v6, vcc
	global_load_dword v6, v[10:11], off
	global_load_dword v7, v[10:11], off offset:1024
	global_load_dword v8, v[10:11], off offset:2048
	;; [unrolled: 1-line block ×3, first 2 shown]
	v_lshlrev_b32_e32 v1, 3, v0
	v_lshrrev_b32_e32 v0, 2, v0
	v_add_lshl_u32 v0, v0, v1, 2
	s_movk_i32 s4, 0x64
	s_waitcnt vmcnt(11)
	v_lshrrev_b32_e32 v10, 3, v12
	s_waitcnt vmcnt(10)
	v_lshrrev_b32_e32 v11, 3, v13
	;; [unrolled: 2-line block ×4, first 2 shown]
	v_and_b32_e32 v10, 0x1ffffffc, v10
	v_and_b32_e32 v11, 0x1ffffffc, v11
	;; [unrolled: 1-line block ×4, first 2 shown]
	v_lshl_add_u32 v10, v12, 2, v10
	v_lshl_add_u32 v11, v13, 2, v11
	;; [unrolled: 1-line block ×4, first 2 shown]
	s_waitcnt vmcnt(7)
	v_lshrrev_b32_e32 v14, 3, v16
	s_waitcnt vmcnt(6)
	v_lshrrev_b32_e32 v15, 3, v17
	;; [unrolled: 2-line block ×4, first 2 shown]
	v_and_b32_e32 v14, 0x1ffffffc, v14
	v_and_b32_e32 v15, 0x1ffffffc, v15
	;; [unrolled: 1-line block ×4, first 2 shown]
	v_lshl_add_u32 v14, v16, 2, v14
	v_lshl_add_u32 v15, v17, 2, v15
	;; [unrolled: 1-line block ×4, first 2 shown]
.LBB125_1:                              ; =>This Inner Loop Header: Depth=1
	ds_write_b32 v10, v2
	ds_write_b32 v11, v3
	;; [unrolled: 1-line block ×4, first 2 shown]
	s_waitcnt vmcnt(3)
	ds_write_b32 v14, v6
	s_waitcnt vmcnt(2)
	ds_write_b32 v15, v7
	;; [unrolled: 2-line block ×4, first 2 shown]
	s_waitcnt lgkmcnt(0)
	s_barrier
	ds_read2_b32 v[2:3], v0 offset1:1
	ds_read2_b32 v[4:5], v0 offset0:2 offset1:3
	ds_read2_b32 v[6:7], v0 offset0:4 offset1:5
	;; [unrolled: 1-line block ×3, first 2 shown]
	s_add_i32 s4, s4, -1
	s_cmp_lg_u32 s4, 0
	s_waitcnt lgkmcnt(0)
	s_barrier
	s_cbranch_scc1 .LBB125_1
; %bb.2:
	s_add_u32 s0, s0, s2
	s_addc_u32 s1, s1, s3
	v_lshlrev_b32_e32 v0, 2, v1
	global_store_dwordx4 v0, v[2:5], s[0:1]
	global_store_dwordx4 v0, v[6:9], s[0:1] offset:16
	s_endpgm
	.section	.rodata,"a",@progbits
	.p2align	6, 0x0
	.amdhsa_kernel _Z6kernelI18scatter_to_blockediLj256ELj8ELj100EEvPKT0_PKjPS1_
		.amdhsa_group_segment_fixed_size 8448
		.amdhsa_private_segment_fixed_size 0
		.amdhsa_kernarg_size 24
		.amdhsa_user_sgpr_count 6
		.amdhsa_user_sgpr_private_segment_buffer 1
		.amdhsa_user_sgpr_dispatch_ptr 0
		.amdhsa_user_sgpr_queue_ptr 0
		.amdhsa_user_sgpr_kernarg_segment_ptr 1
		.amdhsa_user_sgpr_dispatch_id 0
		.amdhsa_user_sgpr_flat_scratch_init 0
		.amdhsa_user_sgpr_kernarg_preload_length 0
		.amdhsa_user_sgpr_kernarg_preload_offset 0
		.amdhsa_user_sgpr_private_segment_size 0
		.amdhsa_uses_dynamic_stack 0
		.amdhsa_system_sgpr_private_segment_wavefront_offset 0
		.amdhsa_system_sgpr_workgroup_id_x 1
		.amdhsa_system_sgpr_workgroup_id_y 0
		.amdhsa_system_sgpr_workgroup_id_z 0
		.amdhsa_system_sgpr_workgroup_info 0
		.amdhsa_system_vgpr_workitem_id 0
		.amdhsa_next_free_vgpr 22
		.amdhsa_next_free_sgpr 12
		.amdhsa_accum_offset 24
		.amdhsa_reserve_vcc 1
		.amdhsa_reserve_flat_scratch 0
		.amdhsa_float_round_mode_32 0
		.amdhsa_float_round_mode_16_64 0
		.amdhsa_float_denorm_mode_32 3
		.amdhsa_float_denorm_mode_16_64 3
		.amdhsa_dx10_clamp 1
		.amdhsa_ieee_mode 1
		.amdhsa_fp16_overflow 0
		.amdhsa_tg_split 0
		.amdhsa_exception_fp_ieee_invalid_op 0
		.amdhsa_exception_fp_denorm_src 0
		.amdhsa_exception_fp_ieee_div_zero 0
		.amdhsa_exception_fp_ieee_overflow 0
		.amdhsa_exception_fp_ieee_underflow 0
		.amdhsa_exception_fp_ieee_inexact 0
		.amdhsa_exception_int_div_zero 0
	.end_amdhsa_kernel
	.section	.text._Z6kernelI18scatter_to_blockediLj256ELj8ELj100EEvPKT0_PKjPS1_,"axG",@progbits,_Z6kernelI18scatter_to_blockediLj256ELj8ELj100EEvPKT0_PKjPS1_,comdat
.Lfunc_end125:
	.size	_Z6kernelI18scatter_to_blockediLj256ELj8ELj100EEvPKT0_PKjPS1_, .Lfunc_end125-_Z6kernelI18scatter_to_blockediLj256ELj8ELj100EEvPKT0_PKjPS1_
                                        ; -- End function
	.section	.AMDGPU.csdata,"",@progbits
; Kernel info:
; codeLenInByte = 608
; NumSgprs: 16
; NumVgprs: 22
; NumAgprs: 0
; TotalNumVgprs: 22
; ScratchSize: 0
; MemoryBound: 0
; FloatMode: 240
; IeeeMode: 1
; LDSByteSize: 8448 bytes/workgroup (compile time only)
; SGPRBlocks: 1
; VGPRBlocks: 2
; NumSGPRsForWavesPerEU: 16
; NumVGPRsForWavesPerEU: 22
; AccumOffset: 24
; Occupancy: 7
; WaveLimiterHint : 1
; COMPUTE_PGM_RSRC2:SCRATCH_EN: 0
; COMPUTE_PGM_RSRC2:USER_SGPR: 6
; COMPUTE_PGM_RSRC2:TRAP_HANDLER: 0
; COMPUTE_PGM_RSRC2:TGID_X_EN: 1
; COMPUTE_PGM_RSRC2:TGID_Y_EN: 0
; COMPUTE_PGM_RSRC2:TGID_Z_EN: 0
; COMPUTE_PGM_RSRC2:TIDIG_COMP_CNT: 0
; COMPUTE_PGM_RSRC3_GFX90A:ACCUM_OFFSET: 5
; COMPUTE_PGM_RSRC3_GFX90A:TG_SPLIT: 0
	.section	.text._Z6kernelI18scatter_to_blockedaLj256ELj1ELj100EEvPKT0_PKjPS1_,"axG",@progbits,_Z6kernelI18scatter_to_blockedaLj256ELj1ELj100EEvPKT0_PKjPS1_,comdat
	.protected	_Z6kernelI18scatter_to_blockedaLj256ELj1ELj100EEvPKT0_PKjPS1_ ; -- Begin function _Z6kernelI18scatter_to_blockedaLj256ELj1ELj100EEvPKT0_PKjPS1_
	.globl	_Z6kernelI18scatter_to_blockedaLj256ELj1ELj100EEvPKT0_PKjPS1_
	.p2align	8
	.type	_Z6kernelI18scatter_to_blockedaLj256ELj1ELj100EEvPKT0_PKjPS1_,@function
_Z6kernelI18scatter_to_blockedaLj256ELj1ELj100EEvPKT0_PKjPS1_: ; @_Z6kernelI18scatter_to_blockedaLj256ELj1ELj100EEvPKT0_PKjPS1_
; %bb.0:
	s_load_dwordx4 s[8:11], s[4:5], 0x0
	s_load_dwordx2 s[0:1], s[4:5], 0x10
	s_lshl_b32 s2, s6, 8
	s_mov_b32 s3, 0
	v_lshlrev_b32_e32 v2, 2, v0
	s_waitcnt lgkmcnt(0)
	s_add_u32 s4, s8, s2
	s_addc_u32 s5, s9, 0
	global_load_ubyte v1, v0, s[4:5]
	s_lshl_b64 s[4:5], s[2:3], 2
	s_add_u32 s4, s10, s4
	s_addc_u32 s5, s11, s5
	global_load_dword v2, v2, s[4:5]
	s_movk_i32 s3, 0x64
.LBB126_1:                              ; =>This Inner Loop Header: Depth=1
	s_waitcnt vmcnt(0)
	ds_write_b8 v2, v1
	s_waitcnt lgkmcnt(0)
	s_barrier
	ds_read_u8 v1, v0
	s_add_i32 s3, s3, -1
	s_cmp_lg_u32 s3, 0
	s_waitcnt lgkmcnt(0)
	s_barrier
	s_cbranch_scc1 .LBB126_1
; %bb.2:
	s_add_u32 s0, s0, s2
	s_addc_u32 s1, s1, 0
	v_mov_b32_e32 v3, s1
	v_add_co_u32_e32 v2, vcc, s0, v0
	v_addc_co_u32_e32 v3, vcc, 0, v3, vcc
	global_store_byte v[2:3], v1, off
	s_endpgm
	.section	.rodata,"a",@progbits
	.p2align	6, 0x0
	.amdhsa_kernel _Z6kernelI18scatter_to_blockedaLj256ELj1ELj100EEvPKT0_PKjPS1_
		.amdhsa_group_segment_fixed_size 256
		.amdhsa_private_segment_fixed_size 0
		.amdhsa_kernarg_size 24
		.amdhsa_user_sgpr_count 6
		.amdhsa_user_sgpr_private_segment_buffer 1
		.amdhsa_user_sgpr_dispatch_ptr 0
		.amdhsa_user_sgpr_queue_ptr 0
		.amdhsa_user_sgpr_kernarg_segment_ptr 1
		.amdhsa_user_sgpr_dispatch_id 0
		.amdhsa_user_sgpr_flat_scratch_init 0
		.amdhsa_user_sgpr_kernarg_preload_length 0
		.amdhsa_user_sgpr_kernarg_preload_offset 0
		.amdhsa_user_sgpr_private_segment_size 0
		.amdhsa_uses_dynamic_stack 0
		.amdhsa_system_sgpr_private_segment_wavefront_offset 0
		.amdhsa_system_sgpr_workgroup_id_x 1
		.amdhsa_system_sgpr_workgroup_id_y 0
		.amdhsa_system_sgpr_workgroup_id_z 0
		.amdhsa_system_sgpr_workgroup_info 0
		.amdhsa_system_vgpr_workitem_id 0
		.amdhsa_next_free_vgpr 4
		.amdhsa_next_free_sgpr 12
		.amdhsa_accum_offset 4
		.amdhsa_reserve_vcc 1
		.amdhsa_reserve_flat_scratch 0
		.amdhsa_float_round_mode_32 0
		.amdhsa_float_round_mode_16_64 0
		.amdhsa_float_denorm_mode_32 3
		.amdhsa_float_denorm_mode_16_64 3
		.amdhsa_dx10_clamp 1
		.amdhsa_ieee_mode 1
		.amdhsa_fp16_overflow 0
		.amdhsa_tg_split 0
		.amdhsa_exception_fp_ieee_invalid_op 0
		.amdhsa_exception_fp_denorm_src 0
		.amdhsa_exception_fp_ieee_div_zero 0
		.amdhsa_exception_fp_ieee_overflow 0
		.amdhsa_exception_fp_ieee_underflow 0
		.amdhsa_exception_fp_ieee_inexact 0
		.amdhsa_exception_int_div_zero 0
	.end_amdhsa_kernel
	.section	.text._Z6kernelI18scatter_to_blockedaLj256ELj1ELj100EEvPKT0_PKjPS1_,"axG",@progbits,_Z6kernelI18scatter_to_blockedaLj256ELj1ELj100EEvPKT0_PKjPS1_,comdat
.Lfunc_end126:
	.size	_Z6kernelI18scatter_to_blockedaLj256ELj1ELj100EEvPKT0_PKjPS1_, .Lfunc_end126-_Z6kernelI18scatter_to_blockedaLj256ELj1ELj100EEvPKT0_PKjPS1_
                                        ; -- End function
	.section	.AMDGPU.csdata,"",@progbits
; Kernel info:
; codeLenInByte = 152
; NumSgprs: 16
; NumVgprs: 4
; NumAgprs: 0
; TotalNumVgprs: 4
; ScratchSize: 0
; MemoryBound: 0
; FloatMode: 240
; IeeeMode: 1
; LDSByteSize: 256 bytes/workgroup (compile time only)
; SGPRBlocks: 1
; VGPRBlocks: 0
; NumSGPRsForWavesPerEU: 16
; NumVGPRsForWavesPerEU: 4
; AccumOffset: 4
; Occupancy: 8
; WaveLimiterHint : 0
; COMPUTE_PGM_RSRC2:SCRATCH_EN: 0
; COMPUTE_PGM_RSRC2:USER_SGPR: 6
; COMPUTE_PGM_RSRC2:TRAP_HANDLER: 0
; COMPUTE_PGM_RSRC2:TGID_X_EN: 1
; COMPUTE_PGM_RSRC2:TGID_Y_EN: 0
; COMPUTE_PGM_RSRC2:TGID_Z_EN: 0
; COMPUTE_PGM_RSRC2:TIDIG_COMP_CNT: 0
; COMPUTE_PGM_RSRC3_GFX90A:ACCUM_OFFSET: 0
; COMPUTE_PGM_RSRC3_GFX90A:TG_SPLIT: 0
	.section	.text._Z6kernelI18scatter_to_blockedaLj256ELj2ELj100EEvPKT0_PKjPS1_,"axG",@progbits,_Z6kernelI18scatter_to_blockedaLj256ELj2ELj100EEvPKT0_PKjPS1_,comdat
	.protected	_Z6kernelI18scatter_to_blockedaLj256ELj2ELj100EEvPKT0_PKjPS1_ ; -- Begin function _Z6kernelI18scatter_to_blockedaLj256ELj2ELj100EEvPKT0_PKjPS1_
	.globl	_Z6kernelI18scatter_to_blockedaLj256ELj2ELj100EEvPKT0_PKjPS1_
	.p2align	8
	.type	_Z6kernelI18scatter_to_blockedaLj256ELj2ELj100EEvPKT0_PKjPS1_,@function
_Z6kernelI18scatter_to_blockedaLj256ELj2ELj100EEvPKT0_PKjPS1_: ; @_Z6kernelI18scatter_to_blockedaLj256ELj2ELj100EEvPKT0_PKjPS1_
; %bb.0:
	s_load_dwordx4 s[8:11], s[4:5], 0x0
	s_load_dwordx2 s[0:1], s[4:5], 0x10
	s_lshl_b32 s2, s6, 9
	s_mov_b32 s3, 0
	v_lshlrev_b32_e32 v1, 2, v0
	s_waitcnt lgkmcnt(0)
	s_add_u32 s4, s8, s2
	s_addc_u32 s5, s9, 0
	global_load_ubyte v2, v0, s[4:5]
	global_load_ubyte v3, v0, s[4:5] offset:256
	s_lshl_b64 s[4:5], s[2:3], 2
	s_add_u32 s4, s10, s4
	s_addc_u32 s5, s11, s5
	global_load_dword v4, v1, s[4:5]
	global_load_dword v5, v1, s[4:5] offset:1024
	v_lshlrev_b32_e32 v1, 1, v0
	v_lshrrev_b32_e32 v0, 4, v0
	v_and_b32_e32 v0, 12, v0
	s_movk_i32 s3, 0x64
	v_add_u32_e32 v0, v0, v1
	s_waitcnt vmcnt(2)
	v_lshlrev_b16_e32 v3, 8, v3
	v_or_b32_e32 v2, v2, v3
	v_and_b32_e32 v2, 0xffff, v2
	s_waitcnt vmcnt(1)
	v_lshrrev_b32_e32 v3, 5, v4
	s_waitcnt vmcnt(0)
	v_lshrrev_b32_e32 v6, 5, v5
	v_and_b32_e32 v3, 0x7fffffc, v3
	v_and_b32_e32 v6, 0x7fffffc, v6
	v_add_u32_e32 v3, v3, v4
	v_add_u32_e32 v4, v6, v5
.LBB127_1:                              ; =>This Inner Loop Header: Depth=1
	ds_write_b8 v3, v2
	v_lshrrev_b16_e32 v2, 8, v2
	ds_write_b8 v4, v2
	s_waitcnt lgkmcnt(0)
	s_barrier
	ds_read_u16 v2, v0
	s_add_i32 s3, s3, -1
	s_cmp_lg_u32 s3, 0
	s_waitcnt lgkmcnt(0)
	s_barrier
	s_cbranch_scc1 .LBB127_1
; %bb.2:
	v_lshrrev_b16_e32 v0, 8, v2
	s_add_u32 s0, s0, s2
	v_lshlrev_b16_e32 v0, 8, v0
	s_addc_u32 s1, s1, 0
	v_or_b32_sdwa v0, v2, v0 dst_sel:DWORD dst_unused:UNUSED_PAD src0_sel:BYTE_0 src1_sel:DWORD
	global_store_short v1, v0, s[0:1]
	s_endpgm
	.section	.rodata,"a",@progbits
	.p2align	6, 0x0
	.amdhsa_kernel _Z6kernelI18scatter_to_blockedaLj256ELj2ELj100EEvPKT0_PKjPS1_
		.amdhsa_group_segment_fixed_size 528
		.amdhsa_private_segment_fixed_size 0
		.amdhsa_kernarg_size 24
		.amdhsa_user_sgpr_count 6
		.amdhsa_user_sgpr_private_segment_buffer 1
		.amdhsa_user_sgpr_dispatch_ptr 0
		.amdhsa_user_sgpr_queue_ptr 0
		.amdhsa_user_sgpr_kernarg_segment_ptr 1
		.amdhsa_user_sgpr_dispatch_id 0
		.amdhsa_user_sgpr_flat_scratch_init 0
		.amdhsa_user_sgpr_kernarg_preload_length 0
		.amdhsa_user_sgpr_kernarg_preload_offset 0
		.amdhsa_user_sgpr_private_segment_size 0
		.amdhsa_uses_dynamic_stack 0
		.amdhsa_system_sgpr_private_segment_wavefront_offset 0
		.amdhsa_system_sgpr_workgroup_id_x 1
		.amdhsa_system_sgpr_workgroup_id_y 0
		.amdhsa_system_sgpr_workgroup_id_z 0
		.amdhsa_system_sgpr_workgroup_info 0
		.amdhsa_system_vgpr_workitem_id 0
		.amdhsa_next_free_vgpr 7
		.amdhsa_next_free_sgpr 12
		.amdhsa_accum_offset 8
		.amdhsa_reserve_vcc 0
		.amdhsa_reserve_flat_scratch 0
		.amdhsa_float_round_mode_32 0
		.amdhsa_float_round_mode_16_64 0
		.amdhsa_float_denorm_mode_32 3
		.amdhsa_float_denorm_mode_16_64 3
		.amdhsa_dx10_clamp 1
		.amdhsa_ieee_mode 1
		.amdhsa_fp16_overflow 0
		.amdhsa_tg_split 0
		.amdhsa_exception_fp_ieee_invalid_op 0
		.amdhsa_exception_fp_denorm_src 0
		.amdhsa_exception_fp_ieee_div_zero 0
		.amdhsa_exception_fp_ieee_overflow 0
		.amdhsa_exception_fp_ieee_underflow 0
		.amdhsa_exception_fp_ieee_inexact 0
		.amdhsa_exception_int_div_zero 0
	.end_amdhsa_kernel
	.section	.text._Z6kernelI18scatter_to_blockedaLj256ELj2ELj100EEvPKT0_PKjPS1_,"axG",@progbits,_Z6kernelI18scatter_to_blockedaLj256ELj2ELj100EEvPKT0_PKjPS1_,comdat
.Lfunc_end127:
	.size	_Z6kernelI18scatter_to_blockedaLj256ELj2ELj100EEvPKT0_PKjPS1_, .Lfunc_end127-_Z6kernelI18scatter_to_blockedaLj256ELj2ELj100EEvPKT0_PKjPS1_
                                        ; -- End function
	.section	.AMDGPU.csdata,"",@progbits
; Kernel info:
; codeLenInByte = 256
; NumSgprs: 16
; NumVgprs: 7
; NumAgprs: 0
; TotalNumVgprs: 7
; ScratchSize: 0
; MemoryBound: 0
; FloatMode: 240
; IeeeMode: 1
; LDSByteSize: 528 bytes/workgroup (compile time only)
; SGPRBlocks: 1
; VGPRBlocks: 0
; NumSGPRsForWavesPerEU: 16
; NumVGPRsForWavesPerEU: 7
; AccumOffset: 8
; Occupancy: 8
; WaveLimiterHint : 1
; COMPUTE_PGM_RSRC2:SCRATCH_EN: 0
; COMPUTE_PGM_RSRC2:USER_SGPR: 6
; COMPUTE_PGM_RSRC2:TRAP_HANDLER: 0
; COMPUTE_PGM_RSRC2:TGID_X_EN: 1
; COMPUTE_PGM_RSRC2:TGID_Y_EN: 0
; COMPUTE_PGM_RSRC2:TGID_Z_EN: 0
; COMPUTE_PGM_RSRC2:TIDIG_COMP_CNT: 0
; COMPUTE_PGM_RSRC3_GFX90A:ACCUM_OFFSET: 1
; COMPUTE_PGM_RSRC3_GFX90A:TG_SPLIT: 0
	.section	.text._Z6kernelI18scatter_to_blockedaLj256ELj3ELj100EEvPKT0_PKjPS1_,"axG",@progbits,_Z6kernelI18scatter_to_blockedaLj256ELj3ELj100EEvPKT0_PKjPS1_,comdat
	.protected	_Z6kernelI18scatter_to_blockedaLj256ELj3ELj100EEvPKT0_PKjPS1_ ; -- Begin function _Z6kernelI18scatter_to_blockedaLj256ELj3ELj100EEvPKT0_PKjPS1_
	.globl	_Z6kernelI18scatter_to_blockedaLj256ELj3ELj100EEvPKT0_PKjPS1_
	.p2align	8
	.type	_Z6kernelI18scatter_to_blockedaLj256ELj3ELj100EEvPKT0_PKjPS1_,@function
_Z6kernelI18scatter_to_blockedaLj256ELj3ELj100EEvPKT0_PKjPS1_: ; @_Z6kernelI18scatter_to_blockedaLj256ELj3ELj100EEvPKT0_PKjPS1_
; %bb.0:
	s_load_dwordx4 s[8:11], s[4:5], 0x0
	s_load_dwordx2 s[0:1], s[4:5], 0x10
	s_mul_i32 s2, s6, 0x300
	s_mov_b32 s3, 0
	v_lshlrev_b32_e32 v7, 2, v0
	s_waitcnt lgkmcnt(0)
	s_add_u32 s4, s8, s2
	s_addc_u32 s5, s9, 0
	global_load_ubyte v4, v0, s[4:5]
	global_load_ubyte v5, v0, s[4:5] offset:256
	global_load_ubyte v6, v0, s[4:5] offset:512
	s_lshl_b64 s[4:5], s[2:3], 2
	s_add_u32 s4, s10, s4
	s_addc_u32 s5, s11, s5
	global_load_dword v1, v7, s[4:5]
	global_load_dword v2, v7, s[4:5] offset:1024
	global_load_dword v3, v7, s[4:5] offset:2048
	v_mul_u32_u24_e32 v0, 3, v0
	s_movk_i32 s3, 0x64
	s_waitcnt vmcnt(4)
	v_lshlrev_b16_e32 v5, 8, v5
	v_or_b32_e32 v4, v4, v5
	v_and_b32_e32 v4, 0xffff, v4
	s_waitcnt vmcnt(3)
	v_lshl_or_b32 v4, v6, 16, v4
.LBB128_1:                              ; =>This Inner Loop Header: Depth=1
	v_lshrrev_b32_e32 v5, 8, v4
	s_waitcnt vmcnt(2)
	ds_write_b8 v1, v4
	s_waitcnt vmcnt(1)
	ds_write_b8 v2, v5
	s_waitcnt vmcnt(0)
	ds_write_b8_d16_hi v3, v4
	s_waitcnt lgkmcnt(0)
	s_barrier
	ds_read_u8 v4, v0 offset:1
	ds_read_u8 v6, v0
	ds_read_u8 v5, v0 offset:2
	s_add_i32 s3, s3, -1
	s_cmp_lg_u32 s3, 0
	s_waitcnt lgkmcnt(2)
	v_lshlrev_b16_e32 v4, 8, v4
	s_waitcnt lgkmcnt(1)
	v_or_b32_e32 v6, v6, v4
	s_waitcnt lgkmcnt(0)
	v_lshlrev_b32_e32 v4, 16, v5
	v_or_b32_sdwa v4, v6, v4 dst_sel:DWORD dst_unused:UNUSED_PAD src0_sel:WORD_0 src1_sel:DWORD
	s_barrier
	s_cbranch_scc1 .LBB128_1
; %bb.2:
	s_add_u32 s0, s0, s2
	s_addc_u32 s1, s1, 0
	global_store_byte v0, v5, s[0:1] offset:2
	global_store_short v0, v6, s[0:1]
	s_endpgm
	.section	.rodata,"a",@progbits
	.p2align	6, 0x0
	.amdhsa_kernel _Z6kernelI18scatter_to_blockedaLj256ELj3ELj100EEvPKT0_PKjPS1_
		.amdhsa_group_segment_fixed_size 768
		.amdhsa_private_segment_fixed_size 0
		.amdhsa_kernarg_size 24
		.amdhsa_user_sgpr_count 6
		.amdhsa_user_sgpr_private_segment_buffer 1
		.amdhsa_user_sgpr_dispatch_ptr 0
		.amdhsa_user_sgpr_queue_ptr 0
		.amdhsa_user_sgpr_kernarg_segment_ptr 1
		.amdhsa_user_sgpr_dispatch_id 0
		.amdhsa_user_sgpr_flat_scratch_init 0
		.amdhsa_user_sgpr_kernarg_preload_length 0
		.amdhsa_user_sgpr_kernarg_preload_offset 0
		.amdhsa_user_sgpr_private_segment_size 0
		.amdhsa_uses_dynamic_stack 0
		.amdhsa_system_sgpr_private_segment_wavefront_offset 0
		.amdhsa_system_sgpr_workgroup_id_x 1
		.amdhsa_system_sgpr_workgroup_id_y 0
		.amdhsa_system_sgpr_workgroup_id_z 0
		.amdhsa_system_sgpr_workgroup_info 0
		.amdhsa_system_vgpr_workitem_id 0
		.amdhsa_next_free_vgpr 8
		.amdhsa_next_free_sgpr 12
		.amdhsa_accum_offset 8
		.amdhsa_reserve_vcc 0
		.amdhsa_reserve_flat_scratch 0
		.amdhsa_float_round_mode_32 0
		.amdhsa_float_round_mode_16_64 0
		.amdhsa_float_denorm_mode_32 3
		.amdhsa_float_denorm_mode_16_64 3
		.amdhsa_dx10_clamp 1
		.amdhsa_ieee_mode 1
		.amdhsa_fp16_overflow 0
		.amdhsa_tg_split 0
		.amdhsa_exception_fp_ieee_invalid_op 0
		.amdhsa_exception_fp_denorm_src 0
		.amdhsa_exception_fp_ieee_div_zero 0
		.amdhsa_exception_fp_ieee_overflow 0
		.amdhsa_exception_fp_ieee_underflow 0
		.amdhsa_exception_fp_ieee_inexact 0
		.amdhsa_exception_int_div_zero 0
	.end_amdhsa_kernel
	.section	.text._Z6kernelI18scatter_to_blockedaLj256ELj3ELj100EEvPKT0_PKjPS1_,"axG",@progbits,_Z6kernelI18scatter_to_blockedaLj256ELj3ELj100EEvPKT0_PKjPS1_,comdat
.Lfunc_end128:
	.size	_Z6kernelI18scatter_to_blockedaLj256ELj3ELj100EEvPKT0_PKjPS1_, .Lfunc_end128-_Z6kernelI18scatter_to_blockedaLj256ELj3ELj100EEvPKT0_PKjPS1_
                                        ; -- End function
	.section	.AMDGPU.csdata,"",@progbits
; Kernel info:
; codeLenInByte = 292
; NumSgprs: 16
; NumVgprs: 8
; NumAgprs: 0
; TotalNumVgprs: 8
; ScratchSize: 0
; MemoryBound: 0
; FloatMode: 240
; IeeeMode: 1
; LDSByteSize: 768 bytes/workgroup (compile time only)
; SGPRBlocks: 1
; VGPRBlocks: 0
; NumSGPRsForWavesPerEU: 16
; NumVGPRsForWavesPerEU: 8
; AccumOffset: 8
; Occupancy: 8
; WaveLimiterHint : 1
; COMPUTE_PGM_RSRC2:SCRATCH_EN: 0
; COMPUTE_PGM_RSRC2:USER_SGPR: 6
; COMPUTE_PGM_RSRC2:TRAP_HANDLER: 0
; COMPUTE_PGM_RSRC2:TGID_X_EN: 1
; COMPUTE_PGM_RSRC2:TGID_Y_EN: 0
; COMPUTE_PGM_RSRC2:TGID_Z_EN: 0
; COMPUTE_PGM_RSRC2:TIDIG_COMP_CNT: 0
; COMPUTE_PGM_RSRC3_GFX90A:ACCUM_OFFSET: 1
; COMPUTE_PGM_RSRC3_GFX90A:TG_SPLIT: 0
	.section	.text._Z6kernelI18scatter_to_blockedaLj256ELj4ELj100EEvPKT0_PKjPS1_,"axG",@progbits,_Z6kernelI18scatter_to_blockedaLj256ELj4ELj100EEvPKT0_PKjPS1_,comdat
	.protected	_Z6kernelI18scatter_to_blockedaLj256ELj4ELj100EEvPKT0_PKjPS1_ ; -- Begin function _Z6kernelI18scatter_to_blockedaLj256ELj4ELj100EEvPKT0_PKjPS1_
	.globl	_Z6kernelI18scatter_to_blockedaLj256ELj4ELj100EEvPKT0_PKjPS1_
	.p2align	8
	.type	_Z6kernelI18scatter_to_blockedaLj256ELj4ELj100EEvPKT0_PKjPS1_,@function
_Z6kernelI18scatter_to_blockedaLj256ELj4ELj100EEvPKT0_PKjPS1_: ; @_Z6kernelI18scatter_to_blockedaLj256ELj4ELj100EEvPKT0_PKjPS1_
; %bb.0:
	s_load_dwordx4 s[8:11], s[4:5], 0x0
	s_load_dwordx2 s[0:1], s[4:5], 0x10
	s_lshl_b32 s2, s6, 10
	s_mov_b32 s3, 0
	v_lshlrev_b32_e32 v1, 2, v0
	s_waitcnt lgkmcnt(0)
	s_add_u32 s4, s8, s2
	s_addc_u32 s5, s9, 0
	global_load_ubyte v2, v0, s[4:5]
	global_load_ubyte v3, v0, s[4:5] offset:256
	global_load_ubyte v4, v0, s[4:5] offset:512
	;; [unrolled: 1-line block ×3, first 2 shown]
	s_lshl_b64 s[4:5], s[2:3], 2
	s_add_u32 s4, s10, s4
	s_addc_u32 s5, s11, s5
	global_load_dword v6, v1, s[4:5]
	global_load_dword v7, v1, s[4:5] offset:1024
	global_load_dword v8, v1, s[4:5] offset:2048
	;; [unrolled: 1-line block ×3, first 2 shown]
	v_lshrrev_b32_e32 v0, 3, v0
	v_and_b32_e32 v0, 28, v0
	s_movk_i32 s3, 0x64
	v_add_u32_e32 v0, v0, v1
	s_waitcnt vmcnt(6)
	v_lshlrev_b16_e32 v3, 8, v3
	v_or_b32_e32 v2, v2, v3
	s_waitcnt vmcnt(4)
	v_lshlrev_b16_e32 v5, 8, v5
	v_or_b32_sdwa v3, v4, v5 dst_sel:WORD_1 dst_unused:UNUSED_PAD src0_sel:DWORD src1_sel:DWORD
	v_or_b32_sdwa v2, v2, v3 dst_sel:DWORD dst_unused:UNUSED_PAD src0_sel:WORD_0 src1_sel:DWORD
	s_waitcnt vmcnt(3)
	v_lshrrev_b32_e32 v3, 5, v6
	s_waitcnt vmcnt(2)
	v_lshrrev_b32_e32 v4, 5, v7
	;; [unrolled: 2-line block ×4, first 2 shown]
	v_and_b32_e32 v3, 0x7fffffc, v3
	v_and_b32_e32 v4, 0x7fffffc, v4
	;; [unrolled: 1-line block ×4, first 2 shown]
	v_add_u32_e32 v3, v3, v6
	v_add_u32_e32 v4, v4, v7
	;; [unrolled: 1-line block ×4, first 2 shown]
.LBB129_1:                              ; =>This Inner Loop Header: Depth=1
	v_lshrrev_b32_e32 v7, 8, v2
	ds_write_b8 v3, v2
	ds_write_b8 v4, v7
	ds_write_b8_d16_hi v5, v2
	v_lshrrev_b32_e32 v2, 24, v2
	ds_write_b8 v6, v2
	s_waitcnt lgkmcnt(0)
	s_barrier
	ds_read_b32 v2, v0
	s_add_i32 s3, s3, -1
	s_cmp_lg_u32 s3, 0
	s_waitcnt lgkmcnt(0)
	s_barrier
	s_cbranch_scc1 .LBB129_1
; %bb.2:
	s_add_u32 s0, s0, s2
	s_addc_u32 s1, s1, 0
	global_store_dword v1, v2, s[0:1]
	s_endpgm
	.section	.rodata,"a",@progbits
	.p2align	6, 0x0
	.amdhsa_kernel _Z6kernelI18scatter_to_blockedaLj256ELj4ELj100EEvPKT0_PKjPS1_
		.amdhsa_group_segment_fixed_size 1056
		.amdhsa_private_segment_fixed_size 0
		.amdhsa_kernarg_size 24
		.amdhsa_user_sgpr_count 6
		.amdhsa_user_sgpr_private_segment_buffer 1
		.amdhsa_user_sgpr_dispatch_ptr 0
		.amdhsa_user_sgpr_queue_ptr 0
		.amdhsa_user_sgpr_kernarg_segment_ptr 1
		.amdhsa_user_sgpr_dispatch_id 0
		.amdhsa_user_sgpr_flat_scratch_init 0
		.amdhsa_user_sgpr_kernarg_preload_length 0
		.amdhsa_user_sgpr_kernarg_preload_offset 0
		.amdhsa_user_sgpr_private_segment_size 0
		.amdhsa_uses_dynamic_stack 0
		.amdhsa_system_sgpr_private_segment_wavefront_offset 0
		.amdhsa_system_sgpr_workgroup_id_x 1
		.amdhsa_system_sgpr_workgroup_id_y 0
		.amdhsa_system_sgpr_workgroup_id_z 0
		.amdhsa_system_sgpr_workgroup_info 0
		.amdhsa_system_vgpr_workitem_id 0
		.amdhsa_next_free_vgpr 11
		.amdhsa_next_free_sgpr 12
		.amdhsa_accum_offset 12
		.amdhsa_reserve_vcc 0
		.amdhsa_reserve_flat_scratch 0
		.amdhsa_float_round_mode_32 0
		.amdhsa_float_round_mode_16_64 0
		.amdhsa_float_denorm_mode_32 3
		.amdhsa_float_denorm_mode_16_64 3
		.amdhsa_dx10_clamp 1
		.amdhsa_ieee_mode 1
		.amdhsa_fp16_overflow 0
		.amdhsa_tg_split 0
		.amdhsa_exception_fp_ieee_invalid_op 0
		.amdhsa_exception_fp_denorm_src 0
		.amdhsa_exception_fp_ieee_div_zero 0
		.amdhsa_exception_fp_ieee_overflow 0
		.amdhsa_exception_fp_ieee_underflow 0
		.amdhsa_exception_fp_ieee_inexact 0
		.amdhsa_exception_int_div_zero 0
	.end_amdhsa_kernel
	.section	.text._Z6kernelI18scatter_to_blockedaLj256ELj4ELj100EEvPKT0_PKjPS1_,"axG",@progbits,_Z6kernelI18scatter_to_blockedaLj256ELj4ELj100EEvPKT0_PKjPS1_,comdat
.Lfunc_end129:
	.size	_Z6kernelI18scatter_to_blockedaLj256ELj4ELj100EEvPKT0_PKjPS1_, .Lfunc_end129-_Z6kernelI18scatter_to_blockedaLj256ELj4ELj100EEvPKT0_PKjPS1_
                                        ; -- End function
	.section	.AMDGPU.csdata,"",@progbits
; Kernel info:
; codeLenInByte = 344
; NumSgprs: 16
; NumVgprs: 11
; NumAgprs: 0
; TotalNumVgprs: 11
; ScratchSize: 0
; MemoryBound: 0
; FloatMode: 240
; IeeeMode: 1
; LDSByteSize: 1056 bytes/workgroup (compile time only)
; SGPRBlocks: 1
; VGPRBlocks: 1
; NumSGPRsForWavesPerEU: 16
; NumVGPRsForWavesPerEU: 11
; AccumOffset: 12
; Occupancy: 8
; WaveLimiterHint : 1
; COMPUTE_PGM_RSRC2:SCRATCH_EN: 0
; COMPUTE_PGM_RSRC2:USER_SGPR: 6
; COMPUTE_PGM_RSRC2:TRAP_HANDLER: 0
; COMPUTE_PGM_RSRC2:TGID_X_EN: 1
; COMPUTE_PGM_RSRC2:TGID_Y_EN: 0
; COMPUTE_PGM_RSRC2:TGID_Z_EN: 0
; COMPUTE_PGM_RSRC2:TIDIG_COMP_CNT: 0
; COMPUTE_PGM_RSRC3_GFX90A:ACCUM_OFFSET: 2
; COMPUTE_PGM_RSRC3_GFX90A:TG_SPLIT: 0
	.section	.text._Z6kernelI18scatter_to_blockedaLj256ELj7ELj100EEvPKT0_PKjPS1_,"axG",@progbits,_Z6kernelI18scatter_to_blockedaLj256ELj7ELj100EEvPKT0_PKjPS1_,comdat
	.protected	_Z6kernelI18scatter_to_blockedaLj256ELj7ELj100EEvPKT0_PKjPS1_ ; -- Begin function _Z6kernelI18scatter_to_blockedaLj256ELj7ELj100EEvPKT0_PKjPS1_
	.globl	_Z6kernelI18scatter_to_blockedaLj256ELj7ELj100EEvPKT0_PKjPS1_
	.p2align	8
	.type	_Z6kernelI18scatter_to_blockedaLj256ELj7ELj100EEvPKT0_PKjPS1_,@function
_Z6kernelI18scatter_to_blockedaLj256ELj7ELj100EEvPKT0_PKjPS1_: ; @_Z6kernelI18scatter_to_blockedaLj256ELj7ELj100EEvPKT0_PKjPS1_
; %bb.0:
	s_load_dwordx4 s[8:11], s[4:5], 0x0
	s_load_dwordx2 s[0:1], s[4:5], 0x10
	s_mul_i32 s2, s6, 0x700
	s_mov_b32 s3, 0
	v_lshlrev_b32_e32 v17, 2, v0
	s_waitcnt lgkmcnt(0)
	s_add_u32 s4, s8, s2
	s_addc_u32 s5, s9, 0
	global_load_ubyte v11, v0, s[4:5]
	global_load_ubyte v14, v0, s[4:5] offset:256
	global_load_ubyte v15, v0, s[4:5] offset:512
	;; [unrolled: 1-line block ×6, first 2 shown]
	s_lshl_b64 s[4:5], s[2:3], 2
	s_add_u32 s4, s10, s4
	s_addc_u32 s5, s11, s5
	v_mov_b32_e32 v4, s5
	v_add_co_u32_e32 v5, vcc, s4, v17
	v_addc_co_u32_e32 v4, vcc, 0, v4, vcc
	s_movk_i32 s3, 0x1000
	v_add_co_u32_e32 v12, vcc, s3, v5
	v_addc_co_u32_e32 v13, vcc, 0, v4, vcc
	global_load_dword v4, v17, s[4:5]
	global_load_dword v5, v17, s[4:5] offset:1024
	global_load_dword v6, v17, s[4:5] offset:2048
	;; [unrolled: 1-line block ×3, first 2 shown]
	global_load_dword v8, v[12:13], off
	global_load_dword v9, v[12:13], off offset:1024
	global_load_dword v10, v[12:13], off offset:2048
	v_mul_u32_u24_e32 v0, 7, v0
	s_movk_i32 s3, 0x64
	s_waitcnt vmcnt(12)
	v_lshlrev_b16_e32 v12, 8, v14
	v_or_b32_e32 v11, v11, v12
	s_waitcnt vmcnt(10)
	v_lshlrev_b16_e32 v12, 8, v16
	v_or_b32_sdwa v12, v15, v12 dst_sel:WORD_1 dst_unused:UNUSED_PAD src0_sel:DWORD src1_sel:DWORD
	v_or_b32_sdwa v11, v11, v12 dst_sel:DWORD dst_unused:UNUSED_PAD src0_sel:WORD_0 src1_sel:DWORD
.LBB130_1:                              ; =>This Inner Loop Header: Depth=1
	v_lshrrev_b32_e32 v12, 8, v11
	s_waitcnt vmcnt(6)
	ds_write_b8 v4, v11
	s_waitcnt vmcnt(5)
	ds_write_b8 v5, v12
	s_waitcnt vmcnt(4)
	ds_write_b8_d16_hi v6, v11
	v_lshrrev_b32_e32 v11, 24, v11
	s_waitcnt vmcnt(3)
	ds_write_b8 v7, v11
	s_waitcnt vmcnt(2)
	ds_write_b8 v8, v1
	s_waitcnt vmcnt(1)
	ds_write_b8 v9, v3
	s_waitcnt vmcnt(0)
	ds_write_b8 v10, v2
	s_waitcnt lgkmcnt(0)
	s_barrier
	ds_read_b32 v11, v0
	ds_read_u8 v1, v0 offset:4
	ds_read_u8 v3, v0 offset:5
	;; [unrolled: 1-line block ×3, first 2 shown]
	s_add_i32 s3, s3, -1
	s_cmp_lg_u32 s3, 0
	s_waitcnt lgkmcnt(0)
	s_barrier
	s_cbranch_scc1 .LBB130_1
; %bb.2:
	s_add_u32 s0, s0, s2
	s_addc_u32 s1, s1, 0
	v_lshlrev_b16_e32 v3, 8, v3
	v_or_b32_sdwa v1, v1, v3 dst_sel:DWORD dst_unused:UNUSED_PAD src0_sel:BYTE_0 src1_sel:DWORD
	global_store_byte v0, v2, s[0:1] offset:6
	global_store_short v0, v1, s[0:1] offset:4
	global_store_dword v0, v11, s[0:1]
	s_endpgm
	.section	.rodata,"a",@progbits
	.p2align	6, 0x0
	.amdhsa_kernel _Z6kernelI18scatter_to_blockedaLj256ELj7ELj100EEvPKT0_PKjPS1_
		.amdhsa_group_segment_fixed_size 1792
		.amdhsa_private_segment_fixed_size 0
		.amdhsa_kernarg_size 24
		.amdhsa_user_sgpr_count 6
		.amdhsa_user_sgpr_private_segment_buffer 1
		.amdhsa_user_sgpr_dispatch_ptr 0
		.amdhsa_user_sgpr_queue_ptr 0
		.amdhsa_user_sgpr_kernarg_segment_ptr 1
		.amdhsa_user_sgpr_dispatch_id 0
		.amdhsa_user_sgpr_flat_scratch_init 0
		.amdhsa_user_sgpr_kernarg_preload_length 0
		.amdhsa_user_sgpr_kernarg_preload_offset 0
		.amdhsa_user_sgpr_private_segment_size 0
		.amdhsa_uses_dynamic_stack 0
		.amdhsa_system_sgpr_private_segment_wavefront_offset 0
		.amdhsa_system_sgpr_workgroup_id_x 1
		.amdhsa_system_sgpr_workgroup_id_y 0
		.amdhsa_system_sgpr_workgroup_id_z 0
		.amdhsa_system_sgpr_workgroup_info 0
		.amdhsa_system_vgpr_workitem_id 0
		.amdhsa_next_free_vgpr 18
		.amdhsa_next_free_sgpr 12
		.amdhsa_accum_offset 20
		.amdhsa_reserve_vcc 1
		.amdhsa_reserve_flat_scratch 0
		.amdhsa_float_round_mode_32 0
		.amdhsa_float_round_mode_16_64 0
		.amdhsa_float_denorm_mode_32 3
		.amdhsa_float_denorm_mode_16_64 3
		.amdhsa_dx10_clamp 1
		.amdhsa_ieee_mode 1
		.amdhsa_fp16_overflow 0
		.amdhsa_tg_split 0
		.amdhsa_exception_fp_ieee_invalid_op 0
		.amdhsa_exception_fp_denorm_src 0
		.amdhsa_exception_fp_ieee_div_zero 0
		.amdhsa_exception_fp_ieee_overflow 0
		.amdhsa_exception_fp_ieee_underflow 0
		.amdhsa_exception_fp_ieee_inexact 0
		.amdhsa_exception_int_div_zero 0
	.end_amdhsa_kernel
	.section	.text._Z6kernelI18scatter_to_blockedaLj256ELj7ELj100EEvPKT0_PKjPS1_,"axG",@progbits,_Z6kernelI18scatter_to_blockedaLj256ELj7ELj100EEvPKT0_PKjPS1_,comdat
.Lfunc_end130:
	.size	_Z6kernelI18scatter_to_blockedaLj256ELj7ELj100EEvPKT0_PKjPS1_, .Lfunc_end130-_Z6kernelI18scatter_to_blockedaLj256ELj7ELj100EEvPKT0_PKjPS1_
                                        ; -- End function
	.section	.AMDGPU.csdata,"",@progbits
; Kernel info:
; codeLenInByte = 436
; NumSgprs: 16
; NumVgprs: 18
; NumAgprs: 0
; TotalNumVgprs: 18
; ScratchSize: 0
; MemoryBound: 0
; FloatMode: 240
; IeeeMode: 1
; LDSByteSize: 1792 bytes/workgroup (compile time only)
; SGPRBlocks: 1
; VGPRBlocks: 2
; NumSGPRsForWavesPerEU: 16
; NumVGPRsForWavesPerEU: 18
; AccumOffset: 20
; Occupancy: 8
; WaveLimiterHint : 1
; COMPUTE_PGM_RSRC2:SCRATCH_EN: 0
; COMPUTE_PGM_RSRC2:USER_SGPR: 6
; COMPUTE_PGM_RSRC2:TRAP_HANDLER: 0
; COMPUTE_PGM_RSRC2:TGID_X_EN: 1
; COMPUTE_PGM_RSRC2:TGID_Y_EN: 0
; COMPUTE_PGM_RSRC2:TGID_Z_EN: 0
; COMPUTE_PGM_RSRC2:TIDIG_COMP_CNT: 0
; COMPUTE_PGM_RSRC3_GFX90A:ACCUM_OFFSET: 4
; COMPUTE_PGM_RSRC3_GFX90A:TG_SPLIT: 0
	.section	.text._Z6kernelI18scatter_to_blockedaLj256ELj8ELj100EEvPKT0_PKjPS1_,"axG",@progbits,_Z6kernelI18scatter_to_blockedaLj256ELj8ELj100EEvPKT0_PKjPS1_,comdat
	.protected	_Z6kernelI18scatter_to_blockedaLj256ELj8ELj100EEvPKT0_PKjPS1_ ; -- Begin function _Z6kernelI18scatter_to_blockedaLj256ELj8ELj100EEvPKT0_PKjPS1_
	.globl	_Z6kernelI18scatter_to_blockedaLj256ELj8ELj100EEvPKT0_PKjPS1_
	.p2align	8
	.type	_Z6kernelI18scatter_to_blockedaLj256ELj8ELj100EEvPKT0_PKjPS1_,@function
_Z6kernelI18scatter_to_blockedaLj256ELj8ELj100EEvPKT0_PKjPS1_: ; @_Z6kernelI18scatter_to_blockedaLj256ELj8ELj100EEvPKT0_PKjPS1_
; %bb.0:
	s_load_dwordx4 s[8:11], s[4:5], 0x0
	s_load_dwordx2 s[0:1], s[4:5], 0x10
	s_lshl_b32 s2, s6, 11
	s_mov_b32 s3, 0
	v_lshlrev_b32_e32 v2, 2, v0
	s_waitcnt lgkmcnt(0)
	s_add_u32 s4, s8, s2
	s_addc_u32 s5, s9, 0
	global_load_ubyte v1, v0, s[4:5]
	global_load_ubyte v4, v0, s[4:5] offset:256
	global_load_ubyte v5, v0, s[4:5] offset:512
	;; [unrolled: 1-line block ×7, first 2 shown]
	s_lshl_b64 s[4:5], s[2:3], 2
	s_add_u32 s4, s10, s4
	s_addc_u32 s5, s11, s5
	global_load_dword v11, v2, s[4:5]
	global_load_dword v12, v2, s[4:5] offset:1024
	global_load_dword v13, v2, s[4:5] offset:2048
	;; [unrolled: 1-line block ×3, first 2 shown]
	v_mov_b32_e32 v3, s5
	v_add_co_u32_e32 v2, vcc, s4, v2
	v_addc_co_u32_e32 v3, vcc, 0, v3, vcc
	s_movk_i32 s3, 0x1000
	v_add_co_u32_e32 v2, vcc, s3, v2
	v_addc_co_u32_e32 v3, vcc, 0, v3, vcc
	global_load_dword v15, v[2:3], off
	global_load_dword v16, v[2:3], off offset:1024
	global_load_dword v17, v[2:3], off offset:2048
	;; [unrolled: 1-line block ×3, first 2 shown]
	v_lshlrev_b32_e32 v2, 3, v0
	v_lshrrev_b32_e32 v0, 2, v0
	v_and_b32_e32 v0, 60, v0
	v_add_u32_e32 v3, v0, v2
	s_movk_i32 s3, 0x64
	s_waitcnt vmcnt(14)
	v_lshlrev_b16_e32 v0, 8, v4
	v_or_b32_e32 v0, v1, v0
	s_waitcnt vmcnt(12)
	v_lshlrev_b16_e32 v4, 8, v6
	v_or_b32_sdwa v1, v5, v4 dst_sel:WORD_1 dst_unused:UNUSED_PAD src0_sel:DWORD src1_sel:DWORD
	s_waitcnt vmcnt(10)
	v_lshlrev_b16_e32 v6, 8, v8
	v_or_b32_e32 v4, v7, v6
	s_waitcnt vmcnt(8)
	v_lshlrev_b16_e32 v8, 8, v10
	v_or_b32_sdwa v5, v9, v8 dst_sel:WORD_1 dst_unused:UNUSED_PAD src0_sel:DWORD src1_sel:DWORD
	s_waitcnt vmcnt(7)
	v_lshrrev_b32_e32 v6, 5, v11
	s_waitcnt vmcnt(6)
	v_lshrrev_b32_e32 v7, 5, v12
	;; [unrolled: 2-line block ×4, first 2 shown]
	v_or_b32_sdwa v0, v0, v1 dst_sel:DWORD dst_unused:UNUSED_PAD src0_sel:WORD_0 src1_sel:DWORD
	v_or_b32_sdwa v1, v4, v5 dst_sel:DWORD dst_unused:UNUSED_PAD src0_sel:WORD_0 src1_sel:DWORD
	v_and_b32_e32 v4, 0x7fffffc, v6
	v_and_b32_e32 v5, 0x7fffffc, v7
	;; [unrolled: 1-line block ×4, first 2 shown]
	v_add_u32_e32 v4, v4, v11
	s_waitcnt vmcnt(3)
	v_lshrrev_b32_e32 v8, 5, v15
	s_waitcnt vmcnt(2)
	v_lshrrev_b32_e32 v9, 5, v16
	;; [unrolled: 2-line block ×4, first 2 shown]
	v_and_b32_e32 v8, 0x7fffffc, v8
	v_and_b32_e32 v9, 0x7fffffc, v9
	;; [unrolled: 1-line block ×4, first 2 shown]
	v_add_u32_e32 v5, v5, v12
	v_add_u32_e32 v6, v6, v13
	;; [unrolled: 1-line block ×7, first 2 shown]
.LBB131_1:                              ; =>This Inner Loop Header: Depth=1
	v_lshrrev_b32_e32 v12, 8, v0
	ds_write_b8 v4, v0
	ds_write_b8 v5, v12
	ds_write_b8_d16_hi v6, v0
	v_lshrrev_b32_e32 v0, 24, v0
	ds_write_b8 v7, v0
	ds_write_b8 v8, v1
	v_lshrrev_b32_e32 v0, 8, v1
	ds_write_b8 v9, v0
	ds_write_b8_d16_hi v10, v1
	v_lshrrev_b32_e32 v0, 24, v1
	ds_write_b8 v11, v0
	s_waitcnt lgkmcnt(0)
	s_barrier
	ds_read2_b32 v[0:1], v3 offset1:1
	s_add_i32 s3, s3, -1
	s_cmp_lg_u32 s3, 0
	s_waitcnt lgkmcnt(0)
	s_barrier
	s_cbranch_scc1 .LBB131_1
; %bb.2:
	s_add_u32 s0, s0, s2
	s_addc_u32 s1, s1, 0
	global_store_dwordx2 v2, v[0:1], s[0:1]
	s_endpgm
	.section	.rodata,"a",@progbits
	.p2align	6, 0x0
	.amdhsa_kernel _Z6kernelI18scatter_to_blockedaLj256ELj8ELj100EEvPKT0_PKjPS1_
		.amdhsa_group_segment_fixed_size 2112
		.amdhsa_private_segment_fixed_size 0
		.amdhsa_kernarg_size 24
		.amdhsa_user_sgpr_count 6
		.amdhsa_user_sgpr_private_segment_buffer 1
		.amdhsa_user_sgpr_dispatch_ptr 0
		.amdhsa_user_sgpr_queue_ptr 0
		.amdhsa_user_sgpr_kernarg_segment_ptr 1
		.amdhsa_user_sgpr_dispatch_id 0
		.amdhsa_user_sgpr_flat_scratch_init 0
		.amdhsa_user_sgpr_kernarg_preload_length 0
		.amdhsa_user_sgpr_kernarg_preload_offset 0
		.amdhsa_user_sgpr_private_segment_size 0
		.amdhsa_uses_dynamic_stack 0
		.amdhsa_system_sgpr_private_segment_wavefront_offset 0
		.amdhsa_system_sgpr_workgroup_id_x 1
		.amdhsa_system_sgpr_workgroup_id_y 0
		.amdhsa_system_sgpr_workgroup_id_z 0
		.amdhsa_system_sgpr_workgroup_info 0
		.amdhsa_system_vgpr_workitem_id 0
		.amdhsa_next_free_vgpr 19
		.amdhsa_next_free_sgpr 12
		.amdhsa_accum_offset 20
		.amdhsa_reserve_vcc 1
		.amdhsa_reserve_flat_scratch 0
		.amdhsa_float_round_mode_32 0
		.amdhsa_float_round_mode_16_64 0
		.amdhsa_float_denorm_mode_32 3
		.amdhsa_float_denorm_mode_16_64 3
		.amdhsa_dx10_clamp 1
		.amdhsa_ieee_mode 1
		.amdhsa_fp16_overflow 0
		.amdhsa_tg_split 0
		.amdhsa_exception_fp_ieee_invalid_op 0
		.amdhsa_exception_fp_denorm_src 0
		.amdhsa_exception_fp_ieee_div_zero 0
		.amdhsa_exception_fp_ieee_overflow 0
		.amdhsa_exception_fp_ieee_underflow 0
		.amdhsa_exception_fp_ieee_inexact 0
		.amdhsa_exception_int_div_zero 0
	.end_amdhsa_kernel
	.section	.text._Z6kernelI18scatter_to_blockedaLj256ELj8ELj100EEvPKT0_PKjPS1_,"axG",@progbits,_Z6kernelI18scatter_to_blockedaLj256ELj8ELj100EEvPKT0_PKjPS1_,comdat
.Lfunc_end131:
	.size	_Z6kernelI18scatter_to_blockedaLj256ELj8ELj100EEvPKT0_PKjPS1_, .Lfunc_end131-_Z6kernelI18scatter_to_blockedaLj256ELj8ELj100EEvPKT0_PKjPS1_
                                        ; -- End function
	.section	.AMDGPU.csdata,"",@progbits
; Kernel info:
; codeLenInByte = 592
; NumSgprs: 16
; NumVgprs: 19
; NumAgprs: 0
; TotalNumVgprs: 19
; ScratchSize: 0
; MemoryBound: 0
; FloatMode: 240
; IeeeMode: 1
; LDSByteSize: 2112 bytes/workgroup (compile time only)
; SGPRBlocks: 1
; VGPRBlocks: 2
; NumSGPRsForWavesPerEU: 16
; NumVGPRsForWavesPerEU: 19
; AccumOffset: 20
; Occupancy: 8
; WaveLimiterHint : 1
; COMPUTE_PGM_RSRC2:SCRATCH_EN: 0
; COMPUTE_PGM_RSRC2:USER_SGPR: 6
; COMPUTE_PGM_RSRC2:TRAP_HANDLER: 0
; COMPUTE_PGM_RSRC2:TGID_X_EN: 1
; COMPUTE_PGM_RSRC2:TGID_Y_EN: 0
; COMPUTE_PGM_RSRC2:TGID_Z_EN: 0
; COMPUTE_PGM_RSRC2:TIDIG_COMP_CNT: 0
; COMPUTE_PGM_RSRC3_GFX90A:ACCUM_OFFSET: 4
; COMPUTE_PGM_RSRC3_GFX90A:TG_SPLIT: 0
	.section	.text._Z6kernelI18scatter_to_blockedxLj256ELj1ELj100EEvPKT0_PKjPS1_,"axG",@progbits,_Z6kernelI18scatter_to_blockedxLj256ELj1ELj100EEvPKT0_PKjPS1_,comdat
	.protected	_Z6kernelI18scatter_to_blockedxLj256ELj1ELj100EEvPKT0_PKjPS1_ ; -- Begin function _Z6kernelI18scatter_to_blockedxLj256ELj1ELj100EEvPKT0_PKjPS1_
	.globl	_Z6kernelI18scatter_to_blockedxLj256ELj1ELj100EEvPKT0_PKjPS1_
	.p2align	8
	.type	_Z6kernelI18scatter_to_blockedxLj256ELj1ELj100EEvPKT0_PKjPS1_,@function
_Z6kernelI18scatter_to_blockedxLj256ELj1ELj100EEvPKT0_PKjPS1_: ; @_Z6kernelI18scatter_to_blockedxLj256ELj1ELj100EEvPKT0_PKjPS1_
; %bb.0:
	s_load_dwordx4 s[8:11], s[4:5], 0x0
	s_load_dwordx2 s[0:1], s[4:5], 0x10
	s_lshl_b32 s4, s6, 8
	s_mov_b32 s5, 0
	s_lshl_b64 s[2:3], s[4:5], 3
	s_waitcnt lgkmcnt(0)
	s_add_u32 s6, s8, s2
	s_addc_u32 s7, s9, s3
	s_lshl_b64 s[4:5], s[4:5], 2
	s_add_u32 s4, s10, s4
	s_addc_u32 s5, s11, s5
	v_lshlrev_b32_e32 v1, 2, v0
	global_load_dword v4, v1, s[4:5]
	v_lshlrev_b32_e32 v1, 3, v0
	global_load_dwordx2 v[2:3], v1, s[6:7]
	s_movk_i32 s4, 0x64
	s_waitcnt vmcnt(1)
	v_lshlrev_b32_e32 v4, 3, v4
.LBB132_1:                              ; =>This Inner Loop Header: Depth=1
	s_waitcnt vmcnt(0)
	ds_write_b64 v4, v[2:3]
	s_waitcnt lgkmcnt(0)
	s_barrier
	ds_read_b64 v[2:3], v1
	s_add_i32 s4, s4, -1
	s_cmp_lg_u32 s4, 0
	s_waitcnt lgkmcnt(0)
	s_barrier
	s_cbranch_scc1 .LBB132_1
; %bb.2:
	s_add_u32 s0, s0, s2
	s_addc_u32 s1, s1, s3
	v_lshlrev_b32_e32 v0, 3, v0
	global_store_dwordx2 v0, v[2:3], s[0:1]
	s_endpgm
	.section	.rodata,"a",@progbits
	.p2align	6, 0x0
	.amdhsa_kernel _Z6kernelI18scatter_to_blockedxLj256ELj1ELj100EEvPKT0_PKjPS1_
		.amdhsa_group_segment_fixed_size 2048
		.amdhsa_private_segment_fixed_size 0
		.amdhsa_kernarg_size 24
		.amdhsa_user_sgpr_count 6
		.amdhsa_user_sgpr_private_segment_buffer 1
		.amdhsa_user_sgpr_dispatch_ptr 0
		.amdhsa_user_sgpr_queue_ptr 0
		.amdhsa_user_sgpr_kernarg_segment_ptr 1
		.amdhsa_user_sgpr_dispatch_id 0
		.amdhsa_user_sgpr_flat_scratch_init 0
		.amdhsa_user_sgpr_kernarg_preload_length 0
		.amdhsa_user_sgpr_kernarg_preload_offset 0
		.amdhsa_user_sgpr_private_segment_size 0
		.amdhsa_uses_dynamic_stack 0
		.amdhsa_system_sgpr_private_segment_wavefront_offset 0
		.amdhsa_system_sgpr_workgroup_id_x 1
		.amdhsa_system_sgpr_workgroup_id_y 0
		.amdhsa_system_sgpr_workgroup_id_z 0
		.amdhsa_system_sgpr_workgroup_info 0
		.amdhsa_system_vgpr_workitem_id 0
		.amdhsa_next_free_vgpr 5
		.amdhsa_next_free_sgpr 12
		.amdhsa_accum_offset 8
		.amdhsa_reserve_vcc 0
		.amdhsa_reserve_flat_scratch 0
		.amdhsa_float_round_mode_32 0
		.amdhsa_float_round_mode_16_64 0
		.amdhsa_float_denorm_mode_32 3
		.amdhsa_float_denorm_mode_16_64 3
		.amdhsa_dx10_clamp 1
		.amdhsa_ieee_mode 1
		.amdhsa_fp16_overflow 0
		.amdhsa_tg_split 0
		.amdhsa_exception_fp_ieee_invalid_op 0
		.amdhsa_exception_fp_denorm_src 0
		.amdhsa_exception_fp_ieee_div_zero 0
		.amdhsa_exception_fp_ieee_overflow 0
		.amdhsa_exception_fp_ieee_underflow 0
		.amdhsa_exception_fp_ieee_inexact 0
		.amdhsa_exception_int_div_zero 0
	.end_amdhsa_kernel
	.section	.text._Z6kernelI18scatter_to_blockedxLj256ELj1ELj100EEvPKT0_PKjPS1_,"axG",@progbits,_Z6kernelI18scatter_to_blockedxLj256ELj1ELj100EEvPKT0_PKjPS1_,comdat
.Lfunc_end132:
	.size	_Z6kernelI18scatter_to_blockedxLj256ELj1ELj100EEvPKT0_PKjPS1_, .Lfunc_end132-_Z6kernelI18scatter_to_blockedxLj256ELj1ELj100EEvPKT0_PKjPS1_
                                        ; -- End function
	.section	.AMDGPU.csdata,"",@progbits
; Kernel info:
; codeLenInByte = 160
; NumSgprs: 16
; NumVgprs: 5
; NumAgprs: 0
; TotalNumVgprs: 5
; ScratchSize: 0
; MemoryBound: 0
; FloatMode: 240
; IeeeMode: 1
; LDSByteSize: 2048 bytes/workgroup (compile time only)
; SGPRBlocks: 1
; VGPRBlocks: 0
; NumSGPRsForWavesPerEU: 16
; NumVGPRsForWavesPerEU: 5
; AccumOffset: 8
; Occupancy: 8
; WaveLimiterHint : 0
; COMPUTE_PGM_RSRC2:SCRATCH_EN: 0
; COMPUTE_PGM_RSRC2:USER_SGPR: 6
; COMPUTE_PGM_RSRC2:TRAP_HANDLER: 0
; COMPUTE_PGM_RSRC2:TGID_X_EN: 1
; COMPUTE_PGM_RSRC2:TGID_Y_EN: 0
; COMPUTE_PGM_RSRC2:TGID_Z_EN: 0
; COMPUTE_PGM_RSRC2:TIDIG_COMP_CNT: 0
; COMPUTE_PGM_RSRC3_GFX90A:ACCUM_OFFSET: 1
; COMPUTE_PGM_RSRC3_GFX90A:TG_SPLIT: 0
	.section	.text._Z6kernelI18scatter_to_blockedxLj256ELj2ELj100EEvPKT0_PKjPS1_,"axG",@progbits,_Z6kernelI18scatter_to_blockedxLj256ELj2ELj100EEvPKT0_PKjPS1_,comdat
	.protected	_Z6kernelI18scatter_to_blockedxLj256ELj2ELj100EEvPKT0_PKjPS1_ ; -- Begin function _Z6kernelI18scatter_to_blockedxLj256ELj2ELj100EEvPKT0_PKjPS1_
	.globl	_Z6kernelI18scatter_to_blockedxLj256ELj2ELj100EEvPKT0_PKjPS1_
	.p2align	8
	.type	_Z6kernelI18scatter_to_blockedxLj256ELj2ELj100EEvPKT0_PKjPS1_,@function
_Z6kernelI18scatter_to_blockedxLj256ELj2ELj100EEvPKT0_PKjPS1_: ; @_Z6kernelI18scatter_to_blockedxLj256ELj2ELj100EEvPKT0_PKjPS1_
; %bb.0:
	s_load_dwordx4 s[8:11], s[4:5], 0x0
	s_load_dwordx2 s[0:1], s[4:5], 0x10
	s_lshl_b32 s4, s6, 9
	s_mov_b32 s5, 0
	s_lshl_b64 s[2:3], s[4:5], 3
	s_waitcnt lgkmcnt(0)
	s_add_u32 s6, s8, s2
	s_addc_u32 s7, s9, s3
	s_lshl_b64 s[4:5], s[4:5], 2
	s_add_u32 s4, s10, s4
	s_addc_u32 s5, s11, s5
	v_lshlrev_b32_e32 v1, 2, v0
	global_load_dword v6, v1, s[4:5]
	global_load_dword v7, v1, s[4:5] offset:1024
	v_lshlrev_b32_e32 v1, 3, v0
	global_load_dwordx2 v[2:3], v1, s[6:7]
	global_load_dwordx2 v[4:5], v1, s[6:7] offset:2048
	v_lshlrev_b32_e32 v1, 1, v0
	v_lshrrev_b32_e32 v0, 4, v0
	v_add_lshl_u32 v0, v0, v1, 3
	s_movk_i32 s4, 0x64
	s_waitcnt vmcnt(3)
	v_lshrrev_b32_e32 v8, 2, v6
	s_waitcnt vmcnt(2)
	v_lshrrev_b32_e32 v9, 2, v7
	v_and_b32_e32 v8, 0x3ffffff8, v8
	v_and_b32_e32 v9, 0x3ffffff8, v9
	v_lshl_add_u32 v6, v6, 3, v8
	v_lshl_add_u32 v7, v7, 3, v9
.LBB133_1:                              ; =>This Inner Loop Header: Depth=1
	s_waitcnt vmcnt(1)
	ds_write_b64 v6, v[2:3]
	s_waitcnt vmcnt(0)
	ds_write_b64 v7, v[4:5]
	s_waitcnt lgkmcnt(0)
	s_barrier
	ds_read2_b64 v[2:5], v0 offset1:1
	s_add_i32 s4, s4, -1
	s_cmp_lg_u32 s4, 0
	s_waitcnt lgkmcnt(0)
	s_barrier
	s_cbranch_scc1 .LBB133_1
; %bb.2:
	s_add_u32 s0, s0, s2
	s_addc_u32 s1, s1, s3
	v_lshlrev_b32_e32 v0, 3, v1
	global_store_dwordx4 v0, v[2:5], s[0:1]
	s_endpgm
	.section	.rodata,"a",@progbits
	.p2align	6, 0x0
	.amdhsa_kernel _Z6kernelI18scatter_to_blockedxLj256ELj2ELj100EEvPKT0_PKjPS1_
		.amdhsa_group_segment_fixed_size 4224
		.amdhsa_private_segment_fixed_size 0
		.amdhsa_kernarg_size 24
		.amdhsa_user_sgpr_count 6
		.amdhsa_user_sgpr_private_segment_buffer 1
		.amdhsa_user_sgpr_dispatch_ptr 0
		.amdhsa_user_sgpr_queue_ptr 0
		.amdhsa_user_sgpr_kernarg_segment_ptr 1
		.amdhsa_user_sgpr_dispatch_id 0
		.amdhsa_user_sgpr_flat_scratch_init 0
		.amdhsa_user_sgpr_kernarg_preload_length 0
		.amdhsa_user_sgpr_kernarg_preload_offset 0
		.amdhsa_user_sgpr_private_segment_size 0
		.amdhsa_uses_dynamic_stack 0
		.amdhsa_system_sgpr_private_segment_wavefront_offset 0
		.amdhsa_system_sgpr_workgroup_id_x 1
		.amdhsa_system_sgpr_workgroup_id_y 0
		.amdhsa_system_sgpr_workgroup_id_z 0
		.amdhsa_system_sgpr_workgroup_info 0
		.amdhsa_system_vgpr_workitem_id 0
		.amdhsa_next_free_vgpr 10
		.amdhsa_next_free_sgpr 12
		.amdhsa_accum_offset 12
		.amdhsa_reserve_vcc 0
		.amdhsa_reserve_flat_scratch 0
		.amdhsa_float_round_mode_32 0
		.amdhsa_float_round_mode_16_64 0
		.amdhsa_float_denorm_mode_32 3
		.amdhsa_float_denorm_mode_16_64 3
		.amdhsa_dx10_clamp 1
		.amdhsa_ieee_mode 1
		.amdhsa_fp16_overflow 0
		.amdhsa_tg_split 0
		.amdhsa_exception_fp_ieee_invalid_op 0
		.amdhsa_exception_fp_denorm_src 0
		.amdhsa_exception_fp_ieee_div_zero 0
		.amdhsa_exception_fp_ieee_overflow 0
		.amdhsa_exception_fp_ieee_underflow 0
		.amdhsa_exception_fp_ieee_inexact 0
		.amdhsa_exception_int_div_zero 0
	.end_amdhsa_kernel
	.section	.text._Z6kernelI18scatter_to_blockedxLj256ELj2ELj100EEvPKT0_PKjPS1_,"axG",@progbits,_Z6kernelI18scatter_to_blockedxLj256ELj2ELj100EEvPKT0_PKjPS1_,comdat
.Lfunc_end133:
	.size	_Z6kernelI18scatter_to_blockedxLj256ELj2ELj100EEvPKT0_PKjPS1_, .Lfunc_end133-_Z6kernelI18scatter_to_blockedxLj256ELj2ELj100EEvPKT0_PKjPS1_
                                        ; -- End function
	.section	.AMDGPU.csdata,"",@progbits
; Kernel info:
; codeLenInByte = 244
; NumSgprs: 16
; NumVgprs: 10
; NumAgprs: 0
; TotalNumVgprs: 10
; ScratchSize: 0
; MemoryBound: 0
; FloatMode: 240
; IeeeMode: 1
; LDSByteSize: 4224 bytes/workgroup (compile time only)
; SGPRBlocks: 1
; VGPRBlocks: 1
; NumSGPRsForWavesPerEU: 16
; NumVGPRsForWavesPerEU: 10
; AccumOffset: 12
; Occupancy: 8
; WaveLimiterHint : 1
; COMPUTE_PGM_RSRC2:SCRATCH_EN: 0
; COMPUTE_PGM_RSRC2:USER_SGPR: 6
; COMPUTE_PGM_RSRC2:TRAP_HANDLER: 0
; COMPUTE_PGM_RSRC2:TGID_X_EN: 1
; COMPUTE_PGM_RSRC2:TGID_Y_EN: 0
; COMPUTE_PGM_RSRC2:TGID_Z_EN: 0
; COMPUTE_PGM_RSRC2:TIDIG_COMP_CNT: 0
; COMPUTE_PGM_RSRC3_GFX90A:ACCUM_OFFSET: 2
; COMPUTE_PGM_RSRC3_GFX90A:TG_SPLIT: 0
	.section	.text._Z6kernelI18scatter_to_blockedxLj256ELj3ELj100EEvPKT0_PKjPS1_,"axG",@progbits,_Z6kernelI18scatter_to_blockedxLj256ELj3ELj100EEvPKT0_PKjPS1_,comdat
	.protected	_Z6kernelI18scatter_to_blockedxLj256ELj3ELj100EEvPKT0_PKjPS1_ ; -- Begin function _Z6kernelI18scatter_to_blockedxLj256ELj3ELj100EEvPKT0_PKjPS1_
	.globl	_Z6kernelI18scatter_to_blockedxLj256ELj3ELj100EEvPKT0_PKjPS1_
	.p2align	8
	.type	_Z6kernelI18scatter_to_blockedxLj256ELj3ELj100EEvPKT0_PKjPS1_,@function
_Z6kernelI18scatter_to_blockedxLj256ELj3ELj100EEvPKT0_PKjPS1_: ; @_Z6kernelI18scatter_to_blockedxLj256ELj3ELj100EEvPKT0_PKjPS1_
; %bb.0:
	s_load_dwordx4 s[8:11], s[4:5], 0x0
	s_load_dwordx2 s[0:1], s[4:5], 0x10
	s_mul_i32 s4, s6, 0x300
	s_mov_b32 s5, 0
	s_lshl_b64 s[2:3], s[4:5], 3
	s_waitcnt lgkmcnt(0)
	s_add_u32 s6, s8, s2
	s_addc_u32 s7, s9, s3
	v_lshlrev_b32_e32 v1, 3, v0
	v_mov_b32_e32 v2, s7
	v_add_co_u32_e32 v3, vcc, s6, v1
	s_lshl_b64 s[4:5], s[4:5], 2
	v_addc_co_u32_e32 v2, vcc, 0, v2, vcc
	s_movk_i32 s8, 0x1000
	s_add_u32 s4, s10, s4
	v_add_co_u32_e32 v8, vcc, s8, v3
	s_addc_u32 s5, s11, s5
	v_lshlrev_b32_e32 v10, 2, v0
	v_addc_co_u32_e32 v9, vcc, 0, v2, vcc
	global_load_dword v11, v10, s[4:5]
	global_load_dword v12, v10, s[4:5] offset:1024
	global_load_dword v13, v10, s[4:5] offset:2048
	global_load_dwordx2 v[2:3], v1, s[6:7]
	global_load_dwordx2 v[4:5], v1, s[6:7] offset:2048
	global_load_dwordx2 v[6:7], v[8:9], off
	v_mul_u32_u24_e32 v0, 3, v0
	v_lshlrev_b32_e32 v0, 3, v0
	s_movk_i32 s4, 0x64
	s_waitcnt vmcnt(5)
	v_lshlrev_b32_e32 v1, 3, v11
	s_waitcnt vmcnt(4)
	v_lshlrev_b32_e32 v8, 3, v12
	;; [unrolled: 2-line block ×3, first 2 shown]
.LBB134_1:                              ; =>This Inner Loop Header: Depth=1
	s_waitcnt vmcnt(2)
	ds_write_b64 v1, v[2:3]
	s_waitcnt vmcnt(1)
	ds_write_b64 v8, v[4:5]
	;; [unrolled: 2-line block ×3, first 2 shown]
	s_waitcnt lgkmcnt(0)
	s_barrier
	ds_read2_b64 v[2:5], v0 offset1:1
	ds_read_b64 v[6:7], v0 offset:16
	s_add_i32 s4, s4, -1
	s_cmp_lg_u32 s4, 0
	s_waitcnt lgkmcnt(0)
	s_barrier
	s_cbranch_scc1 .LBB134_1
; %bb.2:
	s_add_u32 s0, s0, s2
	s_addc_u32 s1, s1, s3
	global_store_dwordx4 v0, v[2:5], s[0:1]
	global_store_dwordx2 v0, v[6:7], s[0:1] offset:16
	s_endpgm
	.section	.rodata,"a",@progbits
	.p2align	6, 0x0
	.amdhsa_kernel _Z6kernelI18scatter_to_blockedxLj256ELj3ELj100EEvPKT0_PKjPS1_
		.amdhsa_group_segment_fixed_size 6144
		.amdhsa_private_segment_fixed_size 0
		.amdhsa_kernarg_size 24
		.amdhsa_user_sgpr_count 6
		.amdhsa_user_sgpr_private_segment_buffer 1
		.amdhsa_user_sgpr_dispatch_ptr 0
		.amdhsa_user_sgpr_queue_ptr 0
		.amdhsa_user_sgpr_kernarg_segment_ptr 1
		.amdhsa_user_sgpr_dispatch_id 0
		.amdhsa_user_sgpr_flat_scratch_init 0
		.amdhsa_user_sgpr_kernarg_preload_length 0
		.amdhsa_user_sgpr_kernarg_preload_offset 0
		.amdhsa_user_sgpr_private_segment_size 0
		.amdhsa_uses_dynamic_stack 0
		.amdhsa_system_sgpr_private_segment_wavefront_offset 0
		.amdhsa_system_sgpr_workgroup_id_x 1
		.amdhsa_system_sgpr_workgroup_id_y 0
		.amdhsa_system_sgpr_workgroup_id_z 0
		.amdhsa_system_sgpr_workgroup_info 0
		.amdhsa_system_vgpr_workitem_id 0
		.amdhsa_next_free_vgpr 14
		.amdhsa_next_free_sgpr 12
		.amdhsa_accum_offset 16
		.amdhsa_reserve_vcc 1
		.amdhsa_reserve_flat_scratch 0
		.amdhsa_float_round_mode_32 0
		.amdhsa_float_round_mode_16_64 0
		.amdhsa_float_denorm_mode_32 3
		.amdhsa_float_denorm_mode_16_64 3
		.amdhsa_dx10_clamp 1
		.amdhsa_ieee_mode 1
		.amdhsa_fp16_overflow 0
		.amdhsa_tg_split 0
		.amdhsa_exception_fp_ieee_invalid_op 0
		.amdhsa_exception_fp_denorm_src 0
		.amdhsa_exception_fp_ieee_div_zero 0
		.amdhsa_exception_fp_ieee_overflow 0
		.amdhsa_exception_fp_ieee_underflow 0
		.amdhsa_exception_fp_ieee_inexact 0
		.amdhsa_exception_int_div_zero 0
	.end_amdhsa_kernel
	.section	.text._Z6kernelI18scatter_to_blockedxLj256ELj3ELj100EEvPKT0_PKjPS1_,"axG",@progbits,_Z6kernelI18scatter_to_blockedxLj256ELj3ELj100EEvPKT0_PKjPS1_,comdat
.Lfunc_end134:
	.size	_Z6kernelI18scatter_to_blockedxLj256ELj3ELj100EEvPKT0_PKjPS1_, .Lfunc_end134-_Z6kernelI18scatter_to_blockedxLj256ELj3ELj100EEvPKT0_PKjPS1_
                                        ; -- End function
	.section	.AMDGPU.csdata,"",@progbits
; Kernel info:
; codeLenInByte = 280
; NumSgprs: 16
; NumVgprs: 14
; NumAgprs: 0
; TotalNumVgprs: 14
; ScratchSize: 0
; MemoryBound: 0
; FloatMode: 240
; IeeeMode: 1
; LDSByteSize: 6144 bytes/workgroup (compile time only)
; SGPRBlocks: 1
; VGPRBlocks: 1
; NumSGPRsForWavesPerEU: 16
; NumVGPRsForWavesPerEU: 14
; AccumOffset: 16
; Occupancy: 8
; WaveLimiterHint : 1
; COMPUTE_PGM_RSRC2:SCRATCH_EN: 0
; COMPUTE_PGM_RSRC2:USER_SGPR: 6
; COMPUTE_PGM_RSRC2:TRAP_HANDLER: 0
; COMPUTE_PGM_RSRC2:TGID_X_EN: 1
; COMPUTE_PGM_RSRC2:TGID_Y_EN: 0
; COMPUTE_PGM_RSRC2:TGID_Z_EN: 0
; COMPUTE_PGM_RSRC2:TIDIG_COMP_CNT: 0
; COMPUTE_PGM_RSRC3_GFX90A:ACCUM_OFFSET: 3
; COMPUTE_PGM_RSRC3_GFX90A:TG_SPLIT: 0
	.section	.text._Z6kernelI18scatter_to_blockedxLj256ELj4ELj100EEvPKT0_PKjPS1_,"axG",@progbits,_Z6kernelI18scatter_to_blockedxLj256ELj4ELj100EEvPKT0_PKjPS1_,comdat
	.protected	_Z6kernelI18scatter_to_blockedxLj256ELj4ELj100EEvPKT0_PKjPS1_ ; -- Begin function _Z6kernelI18scatter_to_blockedxLj256ELj4ELj100EEvPKT0_PKjPS1_
	.globl	_Z6kernelI18scatter_to_blockedxLj256ELj4ELj100EEvPKT0_PKjPS1_
	.p2align	8
	.type	_Z6kernelI18scatter_to_blockedxLj256ELj4ELj100EEvPKT0_PKjPS1_,@function
_Z6kernelI18scatter_to_blockedxLj256ELj4ELj100EEvPKT0_PKjPS1_: ; @_Z6kernelI18scatter_to_blockedxLj256ELj4ELj100EEvPKT0_PKjPS1_
; %bb.0:
	s_load_dwordx4 s[8:11], s[4:5], 0x0
	s_load_dwordx2 s[0:1], s[4:5], 0x10
	s_lshl_b32 s4, s6, 10
	s_mov_b32 s5, 0
	s_lshl_b64 s[2:3], s[4:5], 3
	s_waitcnt lgkmcnt(0)
	s_add_u32 s6, s8, s2
	s_addc_u32 s7, s9, s3
	s_lshl_b64 s[4:5], s[4:5], 2
	v_lshlrev_b32_e32 v12, 3, v0
	s_add_u32 s4, s10, s4
	v_mov_b32_e32 v2, s7
	s_addc_u32 s5, s11, s5
	v_lshlrev_b32_e32 v1, 2, v0
	v_add_co_u32_e32 v3, vcc, s6, v12
	global_load_dword v13, v1, s[4:5]
	global_load_dword v14, v1, s[4:5] offset:1024
	global_load_dword v15, v1, s[4:5] offset:2048
	;; [unrolled: 1-line block ×3, first 2 shown]
	v_addc_co_u32_e32 v2, vcc, 0, v2, vcc
	s_movk_i32 s4, 0x1000
	v_add_co_u32_e32 v10, vcc, s4, v3
	v_addc_co_u32_e32 v11, vcc, 0, v2, vcc
	global_load_dwordx2 v[2:3], v12, s[6:7]
	global_load_dwordx2 v[4:5], v12, s[6:7] offset:2048
	global_load_dwordx2 v[6:7], v[10:11], off
	global_load_dwordx2 v[8:9], v[10:11], off offset:2048
	v_lshrrev_b32_e32 v0, 3, v0
	v_add_lshl_u32 v0, v0, v1, 3
	s_movk_i32 s4, 0x64
	s_waitcnt vmcnt(7)
	v_lshrrev_b32_e32 v10, 2, v13
	s_waitcnt vmcnt(6)
	v_lshrrev_b32_e32 v11, 2, v14
	;; [unrolled: 2-line block ×4, first 2 shown]
	v_and_b32_e32 v10, 0x3ffffff8, v10
	v_and_b32_e32 v11, 0x3ffffff8, v11
	v_and_b32_e32 v12, 0x3ffffff8, v12
	v_and_b32_e32 v17, 0x3ffffff8, v17
	v_lshl_add_u32 v10, v13, 3, v10
	v_lshl_add_u32 v11, v14, 3, v11
	;; [unrolled: 1-line block ×4, first 2 shown]
.LBB135_1:                              ; =>This Inner Loop Header: Depth=1
	s_waitcnt vmcnt(3)
	ds_write_b64 v10, v[2:3]
	s_waitcnt vmcnt(2)
	ds_write_b64 v11, v[4:5]
	;; [unrolled: 2-line block ×4, first 2 shown]
	s_waitcnt lgkmcnt(0)
	s_barrier
	ds_read2_b64 v[2:5], v0 offset1:1
	ds_read2_b64 v[6:9], v0 offset0:2 offset1:3
	s_add_i32 s4, s4, -1
	s_cmp_lg_u32 s4, 0
	s_waitcnt lgkmcnt(0)
	s_barrier
	s_cbranch_scc1 .LBB135_1
; %bb.2:
	s_add_u32 s0, s0, s2
	s_addc_u32 s1, s1, s3
	v_lshlrev_b32_e32 v0, 3, v1
	global_store_dwordx4 v0, v[2:5], s[0:1]
	global_store_dwordx4 v0, v[6:9], s[0:1] offset:16
	s_endpgm
	.section	.rodata,"a",@progbits
	.p2align	6, 0x0
	.amdhsa_kernel _Z6kernelI18scatter_to_blockedxLj256ELj4ELj100EEvPKT0_PKjPS1_
		.amdhsa_group_segment_fixed_size 8448
		.amdhsa_private_segment_fixed_size 0
		.amdhsa_kernarg_size 24
		.amdhsa_user_sgpr_count 6
		.amdhsa_user_sgpr_private_segment_buffer 1
		.amdhsa_user_sgpr_dispatch_ptr 0
		.amdhsa_user_sgpr_queue_ptr 0
		.amdhsa_user_sgpr_kernarg_segment_ptr 1
		.amdhsa_user_sgpr_dispatch_id 0
		.amdhsa_user_sgpr_flat_scratch_init 0
		.amdhsa_user_sgpr_kernarg_preload_length 0
		.amdhsa_user_sgpr_kernarg_preload_offset 0
		.amdhsa_user_sgpr_private_segment_size 0
		.amdhsa_uses_dynamic_stack 0
		.amdhsa_system_sgpr_private_segment_wavefront_offset 0
		.amdhsa_system_sgpr_workgroup_id_x 1
		.amdhsa_system_sgpr_workgroup_id_y 0
		.amdhsa_system_sgpr_workgroup_id_z 0
		.amdhsa_system_sgpr_workgroup_info 0
		.amdhsa_system_vgpr_workitem_id 0
		.amdhsa_next_free_vgpr 18
		.amdhsa_next_free_sgpr 12
		.amdhsa_accum_offset 20
		.amdhsa_reserve_vcc 1
		.amdhsa_reserve_flat_scratch 0
		.amdhsa_float_round_mode_32 0
		.amdhsa_float_round_mode_16_64 0
		.amdhsa_float_denorm_mode_32 3
		.amdhsa_float_denorm_mode_16_64 3
		.amdhsa_dx10_clamp 1
		.amdhsa_ieee_mode 1
		.amdhsa_fp16_overflow 0
		.amdhsa_tg_split 0
		.amdhsa_exception_fp_ieee_invalid_op 0
		.amdhsa_exception_fp_denorm_src 0
		.amdhsa_exception_fp_ieee_div_zero 0
		.amdhsa_exception_fp_ieee_overflow 0
		.amdhsa_exception_fp_ieee_underflow 0
		.amdhsa_exception_fp_ieee_inexact 0
		.amdhsa_exception_int_div_zero 0
	.end_amdhsa_kernel
	.section	.text._Z6kernelI18scatter_to_blockedxLj256ELj4ELj100EEvPKT0_PKjPS1_,"axG",@progbits,_Z6kernelI18scatter_to_blockedxLj256ELj4ELj100EEvPKT0_PKjPS1_,comdat
.Lfunc_end135:
	.size	_Z6kernelI18scatter_to_blockedxLj256ELj4ELj100EEvPKT0_PKjPS1_, .Lfunc_end135-_Z6kernelI18scatter_to_blockedxLj256ELj4ELj100EEvPKT0_PKjPS1_
                                        ; -- End function
	.section	.AMDGPU.csdata,"",@progbits
; Kernel info:
; codeLenInByte = 384
; NumSgprs: 16
; NumVgprs: 18
; NumAgprs: 0
; TotalNumVgprs: 18
; ScratchSize: 0
; MemoryBound: 0
; FloatMode: 240
; IeeeMode: 1
; LDSByteSize: 8448 bytes/workgroup (compile time only)
; SGPRBlocks: 1
; VGPRBlocks: 2
; NumSGPRsForWavesPerEU: 16
; NumVGPRsForWavesPerEU: 18
; AccumOffset: 20
; Occupancy: 7
; WaveLimiterHint : 1
; COMPUTE_PGM_RSRC2:SCRATCH_EN: 0
; COMPUTE_PGM_RSRC2:USER_SGPR: 6
; COMPUTE_PGM_RSRC2:TRAP_HANDLER: 0
; COMPUTE_PGM_RSRC2:TGID_X_EN: 1
; COMPUTE_PGM_RSRC2:TGID_Y_EN: 0
; COMPUTE_PGM_RSRC2:TGID_Z_EN: 0
; COMPUTE_PGM_RSRC2:TIDIG_COMP_CNT: 0
; COMPUTE_PGM_RSRC3_GFX90A:ACCUM_OFFSET: 4
; COMPUTE_PGM_RSRC3_GFX90A:TG_SPLIT: 0
	.section	.text._Z6kernelI18scatter_to_blockedxLj256ELj7ELj100EEvPKT0_PKjPS1_,"axG",@progbits,_Z6kernelI18scatter_to_blockedxLj256ELj7ELj100EEvPKT0_PKjPS1_,comdat
	.protected	_Z6kernelI18scatter_to_blockedxLj256ELj7ELj100EEvPKT0_PKjPS1_ ; -- Begin function _Z6kernelI18scatter_to_blockedxLj256ELj7ELj100EEvPKT0_PKjPS1_
	.globl	_Z6kernelI18scatter_to_blockedxLj256ELj7ELj100EEvPKT0_PKjPS1_
	.p2align	8
	.type	_Z6kernelI18scatter_to_blockedxLj256ELj7ELj100EEvPKT0_PKjPS1_,@function
_Z6kernelI18scatter_to_blockedxLj256ELj7ELj100EEvPKT0_PKjPS1_: ; @_Z6kernelI18scatter_to_blockedxLj256ELj7ELj100EEvPKT0_PKjPS1_
; %bb.0:
	s_load_dwordx4 s[8:11], s[4:5], 0x0
	s_load_dwordx2 s[0:1], s[4:5], 0x10
	s_mul_i32 s4, s6, 0x700
	s_mov_b32 s5, 0
	s_lshl_b64 s[2:3], s[4:5], 3
	s_waitcnt lgkmcnt(0)
	s_add_u32 s6, s8, s2
	s_addc_u32 s7, s9, s3
	v_lshlrev_b32_e32 v1, 3, v0
	v_mov_b32_e32 v2, s7
	v_add_co_u32_e32 v10, vcc, s6, v1
	v_addc_co_u32_e32 v11, vcc, 0, v2, vcc
	s_movk_i32 s8, 0x1000
	v_add_co_u32_e32 v16, vcc, s8, v10
	v_addc_co_u32_e32 v17, vcc, 0, v11, vcc
	s_movk_i32 s9, 0x2000
	;; [unrolled: 3-line block ×3, first 2 shown]
	s_lshl_b64 s[4:5], s[4:5], 2
	v_add_co_u32_e32 v18, vcc, s9, v10
	s_add_u32 s4, s10, s4
	global_load_dwordx2 v[2:3], v[4:5], off offset:-4096
	global_load_dwordx2 v[6:7], v[4:5], off
	global_load_dwordx2 v[8:9], v[4:5], off offset:2048
	v_addc_co_u32_e32 v19, vcc, 0, v11, vcc
	s_addc_u32 s5, s11, s5
	v_lshlrev_b32_e32 v22, 2, v0
	v_mov_b32_e32 v4, s5
	v_add_co_u32_e32 v5, vcc, s4, v22
	v_addc_co_u32_e32 v4, vcc, 0, v4, vcc
	v_add_co_u32_e32 v20, vcc, s8, v5
	v_addc_co_u32_e32 v21, vcc, 0, v4, vcc
	global_load_dword v23, v22, s[4:5]
	global_load_dword v24, v22, s[4:5] offset:1024
	global_load_dword v25, v22, s[4:5] offset:2048
	;; [unrolled: 1-line block ×3, first 2 shown]
	global_load_dword v27, v[20:21], off
	global_load_dword v28, v[20:21], off offset:1024
	global_load_dword v29, v[20:21], off offset:2048
	global_load_dwordx2 v[10:11], v1, s[6:7]
	global_load_dwordx2 v[12:13], v1, s[6:7] offset:2048
	global_load_dwordx2 v[4:5], v[16:17], off offset:2048
	global_load_dwordx2 v[14:15], v[18:19], off
	v_mul_u32_u24_e32 v0, 7, v0
	v_lshlrev_b32_e32 v0, 3, v0
	s_movk_i32 s4, 0x64
	s_waitcnt vmcnt(10)
	v_lshlrev_b32_e32 v1, 3, v23
	s_waitcnt vmcnt(9)
	v_lshlrev_b32_e32 v16, 3, v24
	;; [unrolled: 2-line block ×7, first 2 shown]
.LBB136_1:                              ; =>This Inner Loop Header: Depth=1
	s_waitcnt vmcnt(3)
	ds_write_b64 v1, v[10:11]
	s_waitcnt vmcnt(2)
	ds_write_b64 v16, v[12:13]
	ds_write_b64 v17, v[2:3]
	s_waitcnt vmcnt(1)
	ds_write_b64 v18, v[4:5]
	ds_write_b64 v19, v[6:7]
	ds_write_b64 v20, v[8:9]
	s_waitcnt vmcnt(0)
	ds_write_b64 v21, v[14:15]
	s_waitcnt lgkmcnt(0)
	s_barrier
	ds_read2_b64 v[10:13], v0 offset1:1
	ds_read2_b64 v[2:5], v0 offset0:2 offset1:3
	ds_read2_b64 v[6:9], v0 offset0:4 offset1:5
	ds_read_b64 v[14:15], v0 offset:48
	s_add_i32 s4, s4, -1
	s_cmp_lg_u32 s4, 0
	s_waitcnt lgkmcnt(0)
	s_barrier
	s_cbranch_scc1 .LBB136_1
; %bb.2:
	s_add_u32 s0, s0, s2
	s_addc_u32 s1, s1, s3
	global_store_dwordx4 v0, v[10:13], s[0:1]
	global_store_dwordx4 v0, v[2:5], s[0:1] offset:16
	global_store_dwordx4 v0, v[6:9], s[0:1] offset:32
	global_store_dwordx2 v0, v[14:15], s[0:1] offset:48
	s_endpgm
	.section	.rodata,"a",@progbits
	.p2align	6, 0x0
	.amdhsa_kernel _Z6kernelI18scatter_to_blockedxLj256ELj7ELj100EEvPKT0_PKjPS1_
		.amdhsa_group_segment_fixed_size 14336
		.amdhsa_private_segment_fixed_size 0
		.amdhsa_kernarg_size 24
		.amdhsa_user_sgpr_count 6
		.amdhsa_user_sgpr_private_segment_buffer 1
		.amdhsa_user_sgpr_dispatch_ptr 0
		.amdhsa_user_sgpr_queue_ptr 0
		.amdhsa_user_sgpr_kernarg_segment_ptr 1
		.amdhsa_user_sgpr_dispatch_id 0
		.amdhsa_user_sgpr_flat_scratch_init 0
		.amdhsa_user_sgpr_kernarg_preload_length 0
		.amdhsa_user_sgpr_kernarg_preload_offset 0
		.amdhsa_user_sgpr_private_segment_size 0
		.amdhsa_uses_dynamic_stack 0
		.amdhsa_system_sgpr_private_segment_wavefront_offset 0
		.amdhsa_system_sgpr_workgroup_id_x 1
		.amdhsa_system_sgpr_workgroup_id_y 0
		.amdhsa_system_sgpr_workgroup_id_z 0
		.amdhsa_system_sgpr_workgroup_info 0
		.amdhsa_system_vgpr_workitem_id 0
		.amdhsa_next_free_vgpr 30
		.amdhsa_next_free_sgpr 12
		.amdhsa_accum_offset 32
		.amdhsa_reserve_vcc 1
		.amdhsa_reserve_flat_scratch 0
		.amdhsa_float_round_mode_32 0
		.amdhsa_float_round_mode_16_64 0
		.amdhsa_float_denorm_mode_32 3
		.amdhsa_float_denorm_mode_16_64 3
		.amdhsa_dx10_clamp 1
		.amdhsa_ieee_mode 1
		.amdhsa_fp16_overflow 0
		.amdhsa_tg_split 0
		.amdhsa_exception_fp_ieee_invalid_op 0
		.amdhsa_exception_fp_denorm_src 0
		.amdhsa_exception_fp_ieee_div_zero 0
		.amdhsa_exception_fp_ieee_overflow 0
		.amdhsa_exception_fp_ieee_underflow 0
		.amdhsa_exception_fp_ieee_inexact 0
		.amdhsa_exception_int_div_zero 0
	.end_amdhsa_kernel
	.section	.text._Z6kernelI18scatter_to_blockedxLj256ELj7ELj100EEvPKT0_PKjPS1_,"axG",@progbits,_Z6kernelI18scatter_to_blockedxLj256ELj7ELj100EEvPKT0_PKjPS1_,comdat
.Lfunc_end136:
	.size	_Z6kernelI18scatter_to_blockedxLj256ELj7ELj100EEvPKT0_PKjPS1_, .Lfunc_end136-_Z6kernelI18scatter_to_blockedxLj256ELj7ELj100EEvPKT0_PKjPS1_
                                        ; -- End function
	.section	.AMDGPU.csdata,"",@progbits
; Kernel info:
; codeLenInByte = 488
; NumSgprs: 16
; NumVgprs: 30
; NumAgprs: 0
; TotalNumVgprs: 30
; ScratchSize: 0
; MemoryBound: 1
; FloatMode: 240
; IeeeMode: 1
; LDSByteSize: 14336 bytes/workgroup (compile time only)
; SGPRBlocks: 1
; VGPRBlocks: 3
; NumSGPRsForWavesPerEU: 16
; NumVGPRsForWavesPerEU: 30
; AccumOffset: 32
; Occupancy: 4
; WaveLimiterHint : 1
; COMPUTE_PGM_RSRC2:SCRATCH_EN: 0
; COMPUTE_PGM_RSRC2:USER_SGPR: 6
; COMPUTE_PGM_RSRC2:TRAP_HANDLER: 0
; COMPUTE_PGM_RSRC2:TGID_X_EN: 1
; COMPUTE_PGM_RSRC2:TGID_Y_EN: 0
; COMPUTE_PGM_RSRC2:TGID_Z_EN: 0
; COMPUTE_PGM_RSRC2:TIDIG_COMP_CNT: 0
; COMPUTE_PGM_RSRC3_GFX90A:ACCUM_OFFSET: 7
; COMPUTE_PGM_RSRC3_GFX90A:TG_SPLIT: 0
	.section	.text._Z6kernelI18scatter_to_blockedxLj256ELj8ELj100EEvPKT0_PKjPS1_,"axG",@progbits,_Z6kernelI18scatter_to_blockedxLj256ELj8ELj100EEvPKT0_PKjPS1_,comdat
	.protected	_Z6kernelI18scatter_to_blockedxLj256ELj8ELj100EEvPKT0_PKjPS1_ ; -- Begin function _Z6kernelI18scatter_to_blockedxLj256ELj8ELj100EEvPKT0_PKjPS1_
	.globl	_Z6kernelI18scatter_to_blockedxLj256ELj8ELj100EEvPKT0_PKjPS1_
	.p2align	8
	.type	_Z6kernelI18scatter_to_blockedxLj256ELj8ELj100EEvPKT0_PKjPS1_,@function
_Z6kernelI18scatter_to_blockedxLj256ELj8ELj100EEvPKT0_PKjPS1_: ; @_Z6kernelI18scatter_to_blockedxLj256ELj8ELj100EEvPKT0_PKjPS1_
; %bb.0:
	s_load_dwordx4 s[0:3], s[4:5], 0x0
	s_load_dwordx2 s[8:9], s[4:5], 0x10
	s_lshl_b32 s6, s6, 11
	s_mov_b32 s7, 0
	s_lshl_b64 s[4:5], s[6:7], 3
	s_waitcnt lgkmcnt(0)
	s_add_u32 s0, s0, s4
	s_addc_u32 s1, s1, s5
	v_lshlrev_b32_e32 v1, 3, v0
	v_mov_b32_e32 v2, s1
	v_add_co_u32_e32 v16, vcc, s0, v1
	v_addc_co_u32_e32 v17, vcc, 0, v2, vcc
	s_movk_i32 s10, 0x1000
	v_add_co_u32_e32 v18, vcc, s10, v16
	global_load_dwordx2 v[2:3], v1, s[0:1]
	global_load_dwordx2 v[4:5], v1, s[0:1] offset:2048
	v_addc_co_u32_e32 v19, vcc, 0, v17, vcc
	s_movk_i32 s0, 0x2000
	v_add_co_u32_e32 v8, vcc, s0, v16
	s_lshl_b64 s[0:1], s[6:7], 2
	s_add_u32 s0, s2, s0
	v_addc_co_u32_e32 v9, vcc, 0, v17, vcc
	s_addc_u32 s1, s3, s1
	v_lshlrev_b32_e32 v6, 2, v0
	v_mov_b32_e32 v7, s1
	global_load_dword v22, v6, s[0:1]
	global_load_dword v23, v6, s[0:1] offset:1024
	global_load_dword v24, v6, s[0:1] offset:2048
	;; [unrolled: 1-line block ×3, first 2 shown]
	v_add_co_u32_e32 v6, vcc, s0, v6
	v_addc_co_u32_e32 v7, vcc, 0, v7, vcc
	v_add_co_u32_e32 v14, vcc, s10, v6
	v_addc_co_u32_e32 v15, vcc, 0, v7, vcc
	s_movk_i32 s0, 0x3000
	v_add_co_u32_e32 v20, vcc, s0, v16
	global_load_dword v26, v[14:15], off
	global_load_dword v27, v[14:15], off offset:1024
	global_load_dword v28, v[14:15], off offset:2048
	;; [unrolled: 1-line block ×3, first 2 shown]
	global_load_dwordx2 v[6:7], v[8:9], off offset:-4096
	global_load_dwordx2 v[10:11], v[8:9], off
	global_load_dwordx2 v[12:13], v[8:9], off offset:2048
	v_addc_co_u32_e32 v21, vcc, 0, v17, vcc
	global_load_dwordx2 v[8:9], v[18:19], off offset:2048
	global_load_dwordx2 v[14:15], v[20:21], off
	global_load_dwordx2 v[16:17], v[20:21], off offset:2048
	v_lshrrev_b32_e32 v0, 2, v0
	v_add_lshl_u32 v0, v0, v1, 3
	s_movk_i32 s0, 0x64
	s_waitcnt vmcnt(13)
	v_lshrrev_b32_e32 v18, 2, v22
	s_waitcnt vmcnt(12)
	v_lshrrev_b32_e32 v19, 2, v23
	;; [unrolled: 2-line block ×4, first 2 shown]
	v_and_b32_e32 v18, 0x3ffffff8, v18
	v_and_b32_e32 v19, 0x3ffffff8, v19
	;; [unrolled: 1-line block ×4, first 2 shown]
	v_lshl_add_u32 v18, v22, 3, v18
	v_lshl_add_u32 v19, v23, 3, v19
	;; [unrolled: 1-line block ×4, first 2 shown]
	s_waitcnt vmcnt(9)
	v_lshrrev_b32_e32 v22, 2, v26
	s_waitcnt vmcnt(8)
	v_lshrrev_b32_e32 v23, 2, v27
	;; [unrolled: 2-line block ×4, first 2 shown]
	v_and_b32_e32 v22, 0x3ffffff8, v22
	v_and_b32_e32 v23, 0x3ffffff8, v23
	;; [unrolled: 1-line block ×4, first 2 shown]
	v_lshl_add_u32 v22, v26, 3, v22
	v_lshl_add_u32 v23, v27, 3, v23
	;; [unrolled: 1-line block ×4, first 2 shown]
.LBB137_1:                              ; =>This Inner Loop Header: Depth=1
	ds_write_b64 v18, v[2:3]
	ds_write_b64 v19, v[4:5]
	s_waitcnt vmcnt(5)
	ds_write_b64 v20, v[6:7]
	s_waitcnt vmcnt(2)
	ds_write_b64 v21, v[8:9]
	ds_write_b64 v22, v[10:11]
	;; [unrolled: 1-line block ×3, first 2 shown]
	s_waitcnt vmcnt(1)
	ds_write_b64 v24, v[14:15]
	s_waitcnt vmcnt(0)
	ds_write_b64 v25, v[16:17]
	s_waitcnt lgkmcnt(0)
	s_barrier
	ds_read2_b64 v[2:5], v0 offset1:1
	ds_read2_b64 v[6:9], v0 offset0:2 offset1:3
	ds_read2_b64 v[10:13], v0 offset0:4 offset1:5
	;; [unrolled: 1-line block ×3, first 2 shown]
	s_add_i32 s0, s0, -1
	s_cmp_lg_u32 s0, 0
	s_waitcnt lgkmcnt(0)
	s_barrier
	s_cbranch_scc1 .LBB137_1
; %bb.2:
	s_add_u32 s0, s8, s4
	s_addc_u32 s1, s9, s5
	v_lshlrev_b32_e32 v0, 3, v1
	global_store_dwordx4 v0, v[2:5], s[0:1]
	global_store_dwordx4 v0, v[6:9], s[0:1] offset:16
	global_store_dwordx4 v0, v[10:13], s[0:1] offset:32
	;; [unrolled: 1-line block ×3, first 2 shown]
	s_endpgm
	.section	.rodata,"a",@progbits
	.p2align	6, 0x0
	.amdhsa_kernel _Z6kernelI18scatter_to_blockedxLj256ELj8ELj100EEvPKT0_PKjPS1_
		.amdhsa_group_segment_fixed_size 16896
		.amdhsa_private_segment_fixed_size 0
		.amdhsa_kernarg_size 24
		.amdhsa_user_sgpr_count 6
		.amdhsa_user_sgpr_private_segment_buffer 1
		.amdhsa_user_sgpr_dispatch_ptr 0
		.amdhsa_user_sgpr_queue_ptr 0
		.amdhsa_user_sgpr_kernarg_segment_ptr 1
		.amdhsa_user_sgpr_dispatch_id 0
		.amdhsa_user_sgpr_flat_scratch_init 0
		.amdhsa_user_sgpr_kernarg_preload_length 0
		.amdhsa_user_sgpr_kernarg_preload_offset 0
		.amdhsa_user_sgpr_private_segment_size 0
		.amdhsa_uses_dynamic_stack 0
		.amdhsa_system_sgpr_private_segment_wavefront_offset 0
		.amdhsa_system_sgpr_workgroup_id_x 1
		.amdhsa_system_sgpr_workgroup_id_y 0
		.amdhsa_system_sgpr_workgroup_id_z 0
		.amdhsa_system_sgpr_workgroup_info 0
		.amdhsa_system_vgpr_workitem_id 0
		.amdhsa_next_free_vgpr 30
		.amdhsa_next_free_sgpr 11
		.amdhsa_accum_offset 32
		.amdhsa_reserve_vcc 1
		.amdhsa_reserve_flat_scratch 0
		.amdhsa_float_round_mode_32 0
		.amdhsa_float_round_mode_16_64 0
		.amdhsa_float_denorm_mode_32 3
		.amdhsa_float_denorm_mode_16_64 3
		.amdhsa_dx10_clamp 1
		.amdhsa_ieee_mode 1
		.amdhsa_fp16_overflow 0
		.amdhsa_tg_split 0
		.amdhsa_exception_fp_ieee_invalid_op 0
		.amdhsa_exception_fp_denorm_src 0
		.amdhsa_exception_fp_ieee_div_zero 0
		.amdhsa_exception_fp_ieee_overflow 0
		.amdhsa_exception_fp_ieee_underflow 0
		.amdhsa_exception_fp_ieee_inexact 0
		.amdhsa_exception_int_div_zero 0
	.end_amdhsa_kernel
	.section	.text._Z6kernelI18scatter_to_blockedxLj256ELj8ELj100EEvPKT0_PKjPS1_,"axG",@progbits,_Z6kernelI18scatter_to_blockedxLj256ELj8ELj100EEvPKT0_PKjPS1_,comdat
.Lfunc_end137:
	.size	_Z6kernelI18scatter_to_blockedxLj256ELj8ELj100EEvPKT0_PKjPS1_, .Lfunc_end137-_Z6kernelI18scatter_to_blockedxLj256ELj8ELj100EEvPKT0_PKjPS1_
                                        ; -- End function
	.section	.AMDGPU.csdata,"",@progbits
; Kernel info:
; codeLenInByte = 652
; NumSgprs: 15
; NumVgprs: 30
; NumAgprs: 0
; TotalNumVgprs: 30
; ScratchSize: 0
; MemoryBound: 0
; FloatMode: 240
; IeeeMode: 1
; LDSByteSize: 16896 bytes/workgroup (compile time only)
; SGPRBlocks: 1
; VGPRBlocks: 3
; NumSGPRsForWavesPerEU: 15
; NumVGPRsForWavesPerEU: 30
; AccumOffset: 32
; Occupancy: 3
; WaveLimiterHint : 1
; COMPUTE_PGM_RSRC2:SCRATCH_EN: 0
; COMPUTE_PGM_RSRC2:USER_SGPR: 6
; COMPUTE_PGM_RSRC2:TRAP_HANDLER: 0
; COMPUTE_PGM_RSRC2:TGID_X_EN: 1
; COMPUTE_PGM_RSRC2:TGID_Y_EN: 0
; COMPUTE_PGM_RSRC2:TGID_Z_EN: 0
; COMPUTE_PGM_RSRC2:TIDIG_COMP_CNT: 0
; COMPUTE_PGM_RSRC3_GFX90A:ACCUM_OFFSET: 7
; COMPUTE_PGM_RSRC3_GFX90A:TG_SPLIT: 0
	.section	.text._Z6kernelI18scatter_to_blockedN15benchmark_utils11custom_typeIffEELj256ELj1ELj100EEvPKT0_PKjPS4_,"axG",@progbits,_Z6kernelI18scatter_to_blockedN15benchmark_utils11custom_typeIffEELj256ELj1ELj100EEvPKT0_PKjPS4_,comdat
	.protected	_Z6kernelI18scatter_to_blockedN15benchmark_utils11custom_typeIffEELj256ELj1ELj100EEvPKT0_PKjPS4_ ; -- Begin function _Z6kernelI18scatter_to_blockedN15benchmark_utils11custom_typeIffEELj256ELj1ELj100EEvPKT0_PKjPS4_
	.globl	_Z6kernelI18scatter_to_blockedN15benchmark_utils11custom_typeIffEELj256ELj1ELj100EEvPKT0_PKjPS4_
	.p2align	8
	.type	_Z6kernelI18scatter_to_blockedN15benchmark_utils11custom_typeIffEELj256ELj1ELj100EEvPKT0_PKjPS4_,@function
_Z6kernelI18scatter_to_blockedN15benchmark_utils11custom_typeIffEELj256ELj1ELj100EEvPKT0_PKjPS4_: ; @_Z6kernelI18scatter_to_blockedN15benchmark_utils11custom_typeIffEELj256ELj1ELj100EEvPKT0_PKjPS4_
; %bb.0:
	s_load_dwordx4 s[8:11], s[4:5], 0x0
	s_load_dwordx2 s[0:1], s[4:5], 0x10
	s_lshl_b32 s4, s6, 8
	s_mov_b32 s5, 0
	s_lshl_b64 s[2:3], s[4:5], 3
	s_waitcnt lgkmcnt(0)
	s_add_u32 s6, s8, s2
	s_addc_u32 s7, s9, s3
	s_lshl_b64 s[4:5], s[4:5], 2
	s_add_u32 s4, s10, s4
	s_addc_u32 s5, s11, s5
	v_lshlrev_b32_e32 v1, 2, v0
	global_load_dword v4, v1, s[4:5]
	v_lshlrev_b32_e32 v1, 3, v0
	global_load_dwordx2 v[2:3], v1, s[6:7]
	s_movk_i32 s4, 0x64
	s_waitcnt vmcnt(1)
	v_lshlrev_b32_e32 v4, 3, v4
.LBB138_1:                              ; =>This Inner Loop Header: Depth=1
	s_waitcnt vmcnt(0)
	ds_write_b64 v4, v[2:3]
	s_waitcnt lgkmcnt(0)
	s_barrier
	ds_read_b64 v[2:3], v1
	s_add_i32 s4, s4, -1
	s_cmp_lg_u32 s4, 0
	s_waitcnt lgkmcnt(0)
	s_barrier
	s_cbranch_scc1 .LBB138_1
; %bb.2:
	s_add_u32 s0, s0, s2
	s_addc_u32 s1, s1, s3
	v_lshlrev_b32_e32 v0, 3, v0
	global_store_dwordx2 v0, v[2:3], s[0:1]
	s_endpgm
	.section	.rodata,"a",@progbits
	.p2align	6, 0x0
	.amdhsa_kernel _Z6kernelI18scatter_to_blockedN15benchmark_utils11custom_typeIffEELj256ELj1ELj100EEvPKT0_PKjPS4_
		.amdhsa_group_segment_fixed_size 2048
		.amdhsa_private_segment_fixed_size 0
		.amdhsa_kernarg_size 24
		.amdhsa_user_sgpr_count 6
		.amdhsa_user_sgpr_private_segment_buffer 1
		.amdhsa_user_sgpr_dispatch_ptr 0
		.amdhsa_user_sgpr_queue_ptr 0
		.amdhsa_user_sgpr_kernarg_segment_ptr 1
		.amdhsa_user_sgpr_dispatch_id 0
		.amdhsa_user_sgpr_flat_scratch_init 0
		.amdhsa_user_sgpr_kernarg_preload_length 0
		.amdhsa_user_sgpr_kernarg_preload_offset 0
		.amdhsa_user_sgpr_private_segment_size 0
		.amdhsa_uses_dynamic_stack 0
		.amdhsa_system_sgpr_private_segment_wavefront_offset 0
		.amdhsa_system_sgpr_workgroup_id_x 1
		.amdhsa_system_sgpr_workgroup_id_y 0
		.amdhsa_system_sgpr_workgroup_id_z 0
		.amdhsa_system_sgpr_workgroup_info 0
		.amdhsa_system_vgpr_workitem_id 0
		.amdhsa_next_free_vgpr 5
		.amdhsa_next_free_sgpr 12
		.amdhsa_accum_offset 8
		.amdhsa_reserve_vcc 0
		.amdhsa_reserve_flat_scratch 0
		.amdhsa_float_round_mode_32 0
		.amdhsa_float_round_mode_16_64 0
		.amdhsa_float_denorm_mode_32 3
		.amdhsa_float_denorm_mode_16_64 3
		.amdhsa_dx10_clamp 1
		.amdhsa_ieee_mode 1
		.amdhsa_fp16_overflow 0
		.amdhsa_tg_split 0
		.amdhsa_exception_fp_ieee_invalid_op 0
		.amdhsa_exception_fp_denorm_src 0
		.amdhsa_exception_fp_ieee_div_zero 0
		.amdhsa_exception_fp_ieee_overflow 0
		.amdhsa_exception_fp_ieee_underflow 0
		.amdhsa_exception_fp_ieee_inexact 0
		.amdhsa_exception_int_div_zero 0
	.end_amdhsa_kernel
	.section	.text._Z6kernelI18scatter_to_blockedN15benchmark_utils11custom_typeIffEELj256ELj1ELj100EEvPKT0_PKjPS4_,"axG",@progbits,_Z6kernelI18scatter_to_blockedN15benchmark_utils11custom_typeIffEELj256ELj1ELj100EEvPKT0_PKjPS4_,comdat
.Lfunc_end138:
	.size	_Z6kernelI18scatter_to_blockedN15benchmark_utils11custom_typeIffEELj256ELj1ELj100EEvPKT0_PKjPS4_, .Lfunc_end138-_Z6kernelI18scatter_to_blockedN15benchmark_utils11custom_typeIffEELj256ELj1ELj100EEvPKT0_PKjPS4_
                                        ; -- End function
	.section	.AMDGPU.csdata,"",@progbits
; Kernel info:
; codeLenInByte = 160
; NumSgprs: 16
; NumVgprs: 5
; NumAgprs: 0
; TotalNumVgprs: 5
; ScratchSize: 0
; MemoryBound: 0
; FloatMode: 240
; IeeeMode: 1
; LDSByteSize: 2048 bytes/workgroup (compile time only)
; SGPRBlocks: 1
; VGPRBlocks: 0
; NumSGPRsForWavesPerEU: 16
; NumVGPRsForWavesPerEU: 5
; AccumOffset: 8
; Occupancy: 8
; WaveLimiterHint : 0
; COMPUTE_PGM_RSRC2:SCRATCH_EN: 0
; COMPUTE_PGM_RSRC2:USER_SGPR: 6
; COMPUTE_PGM_RSRC2:TRAP_HANDLER: 0
; COMPUTE_PGM_RSRC2:TGID_X_EN: 1
; COMPUTE_PGM_RSRC2:TGID_Y_EN: 0
; COMPUTE_PGM_RSRC2:TGID_Z_EN: 0
; COMPUTE_PGM_RSRC2:TIDIG_COMP_CNT: 0
; COMPUTE_PGM_RSRC3_GFX90A:ACCUM_OFFSET: 1
; COMPUTE_PGM_RSRC3_GFX90A:TG_SPLIT: 0
	.section	.text._Z6kernelI18scatter_to_blockedN15benchmark_utils11custom_typeIffEELj256ELj2ELj100EEvPKT0_PKjPS4_,"axG",@progbits,_Z6kernelI18scatter_to_blockedN15benchmark_utils11custom_typeIffEELj256ELj2ELj100EEvPKT0_PKjPS4_,comdat
	.protected	_Z6kernelI18scatter_to_blockedN15benchmark_utils11custom_typeIffEELj256ELj2ELj100EEvPKT0_PKjPS4_ ; -- Begin function _Z6kernelI18scatter_to_blockedN15benchmark_utils11custom_typeIffEELj256ELj2ELj100EEvPKT0_PKjPS4_
	.globl	_Z6kernelI18scatter_to_blockedN15benchmark_utils11custom_typeIffEELj256ELj2ELj100EEvPKT0_PKjPS4_
	.p2align	8
	.type	_Z6kernelI18scatter_to_blockedN15benchmark_utils11custom_typeIffEELj256ELj2ELj100EEvPKT0_PKjPS4_,@function
_Z6kernelI18scatter_to_blockedN15benchmark_utils11custom_typeIffEELj256ELj2ELj100EEvPKT0_PKjPS4_: ; @_Z6kernelI18scatter_to_blockedN15benchmark_utils11custom_typeIffEELj256ELj2ELj100EEvPKT0_PKjPS4_
; %bb.0:
	s_load_dwordx4 s[8:11], s[4:5], 0x0
	s_load_dwordx2 s[0:1], s[4:5], 0x10
	s_lshl_b32 s4, s6, 9
	s_mov_b32 s5, 0
	s_lshl_b64 s[2:3], s[4:5], 3
	s_waitcnt lgkmcnt(0)
	s_add_u32 s6, s8, s2
	s_addc_u32 s7, s9, s3
	s_lshl_b64 s[4:5], s[4:5], 2
	s_add_u32 s4, s10, s4
	s_addc_u32 s5, s11, s5
	v_lshlrev_b32_e32 v1, 2, v0
	global_load_dword v6, v1, s[4:5]
	global_load_dword v7, v1, s[4:5] offset:1024
	v_lshlrev_b32_e32 v1, 3, v0
	global_load_dwordx2 v[2:3], v1, s[6:7]
	global_load_dwordx2 v[4:5], v1, s[6:7] offset:2048
	v_lshlrev_b32_e32 v1, 1, v0
	v_lshrrev_b32_e32 v0, 4, v0
	v_add_lshl_u32 v0, v0, v1, 3
	s_movk_i32 s4, 0x64
	s_waitcnt vmcnt(3)
	v_lshrrev_b32_e32 v8, 2, v6
	s_waitcnt vmcnt(2)
	v_lshrrev_b32_e32 v9, 2, v7
	v_and_b32_e32 v8, 0x3ffffff8, v8
	v_and_b32_e32 v9, 0x3ffffff8, v9
	v_lshl_add_u32 v6, v6, 3, v8
	v_lshl_add_u32 v7, v7, 3, v9
.LBB139_1:                              ; =>This Inner Loop Header: Depth=1
	s_waitcnt vmcnt(1)
	ds_write_b64 v6, v[2:3]
	s_waitcnt vmcnt(0)
	ds_write_b64 v7, v[4:5]
	s_waitcnt lgkmcnt(0)
	s_barrier
	ds_read2_b64 v[2:5], v0 offset1:1
	s_add_i32 s4, s4, -1
	s_cmp_lg_u32 s4, 0
	s_waitcnt lgkmcnt(0)
	s_barrier
	s_cbranch_scc1 .LBB139_1
; %bb.2:
	s_add_u32 s0, s0, s2
	s_addc_u32 s1, s1, s3
	v_lshlrev_b32_e32 v0, 3, v1
	global_store_dwordx4 v0, v[2:5], s[0:1]
	s_endpgm
	.section	.rodata,"a",@progbits
	.p2align	6, 0x0
	.amdhsa_kernel _Z6kernelI18scatter_to_blockedN15benchmark_utils11custom_typeIffEELj256ELj2ELj100EEvPKT0_PKjPS4_
		.amdhsa_group_segment_fixed_size 4224
		.amdhsa_private_segment_fixed_size 0
		.amdhsa_kernarg_size 24
		.amdhsa_user_sgpr_count 6
		.amdhsa_user_sgpr_private_segment_buffer 1
		.amdhsa_user_sgpr_dispatch_ptr 0
		.amdhsa_user_sgpr_queue_ptr 0
		.amdhsa_user_sgpr_kernarg_segment_ptr 1
		.amdhsa_user_sgpr_dispatch_id 0
		.amdhsa_user_sgpr_flat_scratch_init 0
		.amdhsa_user_sgpr_kernarg_preload_length 0
		.amdhsa_user_sgpr_kernarg_preload_offset 0
		.amdhsa_user_sgpr_private_segment_size 0
		.amdhsa_uses_dynamic_stack 0
		.amdhsa_system_sgpr_private_segment_wavefront_offset 0
		.amdhsa_system_sgpr_workgroup_id_x 1
		.amdhsa_system_sgpr_workgroup_id_y 0
		.amdhsa_system_sgpr_workgroup_id_z 0
		.amdhsa_system_sgpr_workgroup_info 0
		.amdhsa_system_vgpr_workitem_id 0
		.amdhsa_next_free_vgpr 10
		.amdhsa_next_free_sgpr 12
		.amdhsa_accum_offset 12
		.amdhsa_reserve_vcc 0
		.amdhsa_reserve_flat_scratch 0
		.amdhsa_float_round_mode_32 0
		.amdhsa_float_round_mode_16_64 0
		.amdhsa_float_denorm_mode_32 3
		.amdhsa_float_denorm_mode_16_64 3
		.amdhsa_dx10_clamp 1
		.amdhsa_ieee_mode 1
		.amdhsa_fp16_overflow 0
		.amdhsa_tg_split 0
		.amdhsa_exception_fp_ieee_invalid_op 0
		.amdhsa_exception_fp_denorm_src 0
		.amdhsa_exception_fp_ieee_div_zero 0
		.amdhsa_exception_fp_ieee_overflow 0
		.amdhsa_exception_fp_ieee_underflow 0
		.amdhsa_exception_fp_ieee_inexact 0
		.amdhsa_exception_int_div_zero 0
	.end_amdhsa_kernel
	.section	.text._Z6kernelI18scatter_to_blockedN15benchmark_utils11custom_typeIffEELj256ELj2ELj100EEvPKT0_PKjPS4_,"axG",@progbits,_Z6kernelI18scatter_to_blockedN15benchmark_utils11custom_typeIffEELj256ELj2ELj100EEvPKT0_PKjPS4_,comdat
.Lfunc_end139:
	.size	_Z6kernelI18scatter_to_blockedN15benchmark_utils11custom_typeIffEELj256ELj2ELj100EEvPKT0_PKjPS4_, .Lfunc_end139-_Z6kernelI18scatter_to_blockedN15benchmark_utils11custom_typeIffEELj256ELj2ELj100EEvPKT0_PKjPS4_
                                        ; -- End function
	.section	.AMDGPU.csdata,"",@progbits
; Kernel info:
; codeLenInByte = 244
; NumSgprs: 16
; NumVgprs: 10
; NumAgprs: 0
; TotalNumVgprs: 10
; ScratchSize: 0
; MemoryBound: 0
; FloatMode: 240
; IeeeMode: 1
; LDSByteSize: 4224 bytes/workgroup (compile time only)
; SGPRBlocks: 1
; VGPRBlocks: 1
; NumSGPRsForWavesPerEU: 16
; NumVGPRsForWavesPerEU: 10
; AccumOffset: 12
; Occupancy: 8
; WaveLimiterHint : 1
; COMPUTE_PGM_RSRC2:SCRATCH_EN: 0
; COMPUTE_PGM_RSRC2:USER_SGPR: 6
; COMPUTE_PGM_RSRC2:TRAP_HANDLER: 0
; COMPUTE_PGM_RSRC2:TGID_X_EN: 1
; COMPUTE_PGM_RSRC2:TGID_Y_EN: 0
; COMPUTE_PGM_RSRC2:TGID_Z_EN: 0
; COMPUTE_PGM_RSRC2:TIDIG_COMP_CNT: 0
; COMPUTE_PGM_RSRC3_GFX90A:ACCUM_OFFSET: 2
; COMPUTE_PGM_RSRC3_GFX90A:TG_SPLIT: 0
	.section	.text._Z6kernelI18scatter_to_blockedN15benchmark_utils11custom_typeIffEELj256ELj3ELj100EEvPKT0_PKjPS4_,"axG",@progbits,_Z6kernelI18scatter_to_blockedN15benchmark_utils11custom_typeIffEELj256ELj3ELj100EEvPKT0_PKjPS4_,comdat
	.protected	_Z6kernelI18scatter_to_blockedN15benchmark_utils11custom_typeIffEELj256ELj3ELj100EEvPKT0_PKjPS4_ ; -- Begin function _Z6kernelI18scatter_to_blockedN15benchmark_utils11custom_typeIffEELj256ELj3ELj100EEvPKT0_PKjPS4_
	.globl	_Z6kernelI18scatter_to_blockedN15benchmark_utils11custom_typeIffEELj256ELj3ELj100EEvPKT0_PKjPS4_
	.p2align	8
	.type	_Z6kernelI18scatter_to_blockedN15benchmark_utils11custom_typeIffEELj256ELj3ELj100EEvPKT0_PKjPS4_,@function
_Z6kernelI18scatter_to_blockedN15benchmark_utils11custom_typeIffEELj256ELj3ELj100EEvPKT0_PKjPS4_: ; @_Z6kernelI18scatter_to_blockedN15benchmark_utils11custom_typeIffEELj256ELj3ELj100EEvPKT0_PKjPS4_
; %bb.0:
	s_load_dwordx4 s[8:11], s[4:5], 0x0
	s_load_dwordx2 s[0:1], s[4:5], 0x10
	s_mul_i32 s4, s6, 0x300
	s_mov_b32 s5, 0
	s_lshl_b64 s[2:3], s[4:5], 3
	s_waitcnt lgkmcnt(0)
	s_add_u32 s6, s8, s2
	s_addc_u32 s7, s9, s3
	v_lshlrev_b32_e32 v1, 3, v0
	v_mov_b32_e32 v2, s7
	v_add_co_u32_e32 v3, vcc, s6, v1
	s_lshl_b64 s[4:5], s[4:5], 2
	v_addc_co_u32_e32 v2, vcc, 0, v2, vcc
	s_movk_i32 s8, 0x1000
	s_add_u32 s4, s10, s4
	v_add_co_u32_e32 v8, vcc, s8, v3
	s_addc_u32 s5, s11, s5
	v_lshlrev_b32_e32 v10, 2, v0
	v_addc_co_u32_e32 v9, vcc, 0, v2, vcc
	global_load_dword v11, v10, s[4:5]
	global_load_dword v12, v10, s[4:5] offset:1024
	global_load_dword v13, v10, s[4:5] offset:2048
	global_load_dwordx2 v[2:3], v1, s[6:7]
	global_load_dwordx2 v[4:5], v1, s[6:7] offset:2048
	global_load_dwordx2 v[6:7], v[8:9], off
	v_mul_u32_u24_e32 v0, 3, v0
	v_lshlrev_b32_e32 v0, 3, v0
	s_movk_i32 s4, 0x64
	s_waitcnt vmcnt(5)
	v_lshlrev_b32_e32 v1, 3, v11
	s_waitcnt vmcnt(4)
	v_lshlrev_b32_e32 v8, 3, v12
	;; [unrolled: 2-line block ×3, first 2 shown]
.LBB140_1:                              ; =>This Inner Loop Header: Depth=1
	s_waitcnt vmcnt(2)
	ds_write_b64 v1, v[2:3]
	s_waitcnt vmcnt(1)
	ds_write_b64 v8, v[4:5]
	;; [unrolled: 2-line block ×3, first 2 shown]
	s_waitcnt lgkmcnt(0)
	s_barrier
	ds_read2_b64 v[2:5], v0 offset1:1
	ds_read_b64 v[6:7], v0 offset:16
	s_add_i32 s4, s4, -1
	s_cmp_lg_u32 s4, 0
	s_waitcnt lgkmcnt(0)
	s_barrier
	s_cbranch_scc1 .LBB140_1
; %bb.2:
	s_add_u32 s0, s0, s2
	s_addc_u32 s1, s1, s3
	global_store_dwordx4 v0, v[2:5], s[0:1]
	global_store_dwordx2 v0, v[6:7], s[0:1] offset:16
	s_endpgm
	.section	.rodata,"a",@progbits
	.p2align	6, 0x0
	.amdhsa_kernel _Z6kernelI18scatter_to_blockedN15benchmark_utils11custom_typeIffEELj256ELj3ELj100EEvPKT0_PKjPS4_
		.amdhsa_group_segment_fixed_size 6144
		.amdhsa_private_segment_fixed_size 0
		.amdhsa_kernarg_size 24
		.amdhsa_user_sgpr_count 6
		.amdhsa_user_sgpr_private_segment_buffer 1
		.amdhsa_user_sgpr_dispatch_ptr 0
		.amdhsa_user_sgpr_queue_ptr 0
		.amdhsa_user_sgpr_kernarg_segment_ptr 1
		.amdhsa_user_sgpr_dispatch_id 0
		.amdhsa_user_sgpr_flat_scratch_init 0
		.amdhsa_user_sgpr_kernarg_preload_length 0
		.amdhsa_user_sgpr_kernarg_preload_offset 0
		.amdhsa_user_sgpr_private_segment_size 0
		.amdhsa_uses_dynamic_stack 0
		.amdhsa_system_sgpr_private_segment_wavefront_offset 0
		.amdhsa_system_sgpr_workgroup_id_x 1
		.amdhsa_system_sgpr_workgroup_id_y 0
		.amdhsa_system_sgpr_workgroup_id_z 0
		.amdhsa_system_sgpr_workgroup_info 0
		.amdhsa_system_vgpr_workitem_id 0
		.amdhsa_next_free_vgpr 14
		.amdhsa_next_free_sgpr 12
		.amdhsa_accum_offset 16
		.amdhsa_reserve_vcc 1
		.amdhsa_reserve_flat_scratch 0
		.amdhsa_float_round_mode_32 0
		.amdhsa_float_round_mode_16_64 0
		.amdhsa_float_denorm_mode_32 3
		.amdhsa_float_denorm_mode_16_64 3
		.amdhsa_dx10_clamp 1
		.amdhsa_ieee_mode 1
		.amdhsa_fp16_overflow 0
		.amdhsa_tg_split 0
		.amdhsa_exception_fp_ieee_invalid_op 0
		.amdhsa_exception_fp_denorm_src 0
		.amdhsa_exception_fp_ieee_div_zero 0
		.amdhsa_exception_fp_ieee_overflow 0
		.amdhsa_exception_fp_ieee_underflow 0
		.amdhsa_exception_fp_ieee_inexact 0
		.amdhsa_exception_int_div_zero 0
	.end_amdhsa_kernel
	.section	.text._Z6kernelI18scatter_to_blockedN15benchmark_utils11custom_typeIffEELj256ELj3ELj100EEvPKT0_PKjPS4_,"axG",@progbits,_Z6kernelI18scatter_to_blockedN15benchmark_utils11custom_typeIffEELj256ELj3ELj100EEvPKT0_PKjPS4_,comdat
.Lfunc_end140:
	.size	_Z6kernelI18scatter_to_blockedN15benchmark_utils11custom_typeIffEELj256ELj3ELj100EEvPKT0_PKjPS4_, .Lfunc_end140-_Z6kernelI18scatter_to_blockedN15benchmark_utils11custom_typeIffEELj256ELj3ELj100EEvPKT0_PKjPS4_
                                        ; -- End function
	.section	.AMDGPU.csdata,"",@progbits
; Kernel info:
; codeLenInByte = 280
; NumSgprs: 16
; NumVgprs: 14
; NumAgprs: 0
; TotalNumVgprs: 14
; ScratchSize: 0
; MemoryBound: 0
; FloatMode: 240
; IeeeMode: 1
; LDSByteSize: 6144 bytes/workgroup (compile time only)
; SGPRBlocks: 1
; VGPRBlocks: 1
; NumSGPRsForWavesPerEU: 16
; NumVGPRsForWavesPerEU: 14
; AccumOffset: 16
; Occupancy: 8
; WaveLimiterHint : 1
; COMPUTE_PGM_RSRC2:SCRATCH_EN: 0
; COMPUTE_PGM_RSRC2:USER_SGPR: 6
; COMPUTE_PGM_RSRC2:TRAP_HANDLER: 0
; COMPUTE_PGM_RSRC2:TGID_X_EN: 1
; COMPUTE_PGM_RSRC2:TGID_Y_EN: 0
; COMPUTE_PGM_RSRC2:TGID_Z_EN: 0
; COMPUTE_PGM_RSRC2:TIDIG_COMP_CNT: 0
; COMPUTE_PGM_RSRC3_GFX90A:ACCUM_OFFSET: 3
; COMPUTE_PGM_RSRC3_GFX90A:TG_SPLIT: 0
	.section	.text._Z6kernelI18scatter_to_blockedN15benchmark_utils11custom_typeIffEELj256ELj4ELj100EEvPKT0_PKjPS4_,"axG",@progbits,_Z6kernelI18scatter_to_blockedN15benchmark_utils11custom_typeIffEELj256ELj4ELj100EEvPKT0_PKjPS4_,comdat
	.protected	_Z6kernelI18scatter_to_blockedN15benchmark_utils11custom_typeIffEELj256ELj4ELj100EEvPKT0_PKjPS4_ ; -- Begin function _Z6kernelI18scatter_to_blockedN15benchmark_utils11custom_typeIffEELj256ELj4ELj100EEvPKT0_PKjPS4_
	.globl	_Z6kernelI18scatter_to_blockedN15benchmark_utils11custom_typeIffEELj256ELj4ELj100EEvPKT0_PKjPS4_
	.p2align	8
	.type	_Z6kernelI18scatter_to_blockedN15benchmark_utils11custom_typeIffEELj256ELj4ELj100EEvPKT0_PKjPS4_,@function
_Z6kernelI18scatter_to_blockedN15benchmark_utils11custom_typeIffEELj256ELj4ELj100EEvPKT0_PKjPS4_: ; @_Z6kernelI18scatter_to_blockedN15benchmark_utils11custom_typeIffEELj256ELj4ELj100EEvPKT0_PKjPS4_
; %bb.0:
	s_load_dwordx4 s[8:11], s[4:5], 0x0
	s_load_dwordx2 s[0:1], s[4:5], 0x10
	s_lshl_b32 s4, s6, 10
	s_mov_b32 s5, 0
	s_lshl_b64 s[2:3], s[4:5], 3
	s_waitcnt lgkmcnt(0)
	s_add_u32 s6, s8, s2
	s_addc_u32 s7, s9, s3
	s_lshl_b64 s[4:5], s[4:5], 2
	v_lshlrev_b32_e32 v12, 3, v0
	s_add_u32 s4, s10, s4
	v_mov_b32_e32 v2, s7
	s_addc_u32 s5, s11, s5
	v_lshlrev_b32_e32 v1, 2, v0
	v_add_co_u32_e32 v3, vcc, s6, v12
	global_load_dword v13, v1, s[4:5]
	global_load_dword v14, v1, s[4:5] offset:1024
	global_load_dword v15, v1, s[4:5] offset:2048
	;; [unrolled: 1-line block ×3, first 2 shown]
	v_addc_co_u32_e32 v2, vcc, 0, v2, vcc
	s_movk_i32 s4, 0x1000
	v_add_co_u32_e32 v10, vcc, s4, v3
	v_addc_co_u32_e32 v11, vcc, 0, v2, vcc
	global_load_dwordx2 v[2:3], v12, s[6:7]
	global_load_dwordx2 v[4:5], v12, s[6:7] offset:2048
	global_load_dwordx2 v[6:7], v[10:11], off
	global_load_dwordx2 v[8:9], v[10:11], off offset:2048
	v_lshrrev_b32_e32 v0, 3, v0
	v_add_lshl_u32 v0, v0, v1, 3
	s_movk_i32 s4, 0x64
	s_waitcnt vmcnt(7)
	v_lshrrev_b32_e32 v10, 2, v13
	s_waitcnt vmcnt(6)
	v_lshrrev_b32_e32 v11, 2, v14
	;; [unrolled: 2-line block ×4, first 2 shown]
	v_and_b32_e32 v10, 0x3ffffff8, v10
	v_and_b32_e32 v11, 0x3ffffff8, v11
	v_and_b32_e32 v12, 0x3ffffff8, v12
	v_and_b32_e32 v17, 0x3ffffff8, v17
	v_lshl_add_u32 v10, v13, 3, v10
	v_lshl_add_u32 v11, v14, 3, v11
	;; [unrolled: 1-line block ×4, first 2 shown]
.LBB141_1:                              ; =>This Inner Loop Header: Depth=1
	s_waitcnt vmcnt(3)
	ds_write_b64 v10, v[2:3]
	s_waitcnt vmcnt(2)
	ds_write_b64 v11, v[4:5]
	;; [unrolled: 2-line block ×4, first 2 shown]
	s_waitcnt lgkmcnt(0)
	s_barrier
	ds_read2_b64 v[2:5], v0 offset1:1
	ds_read2_b64 v[6:9], v0 offset0:2 offset1:3
	s_add_i32 s4, s4, -1
	s_cmp_lg_u32 s4, 0
	s_waitcnt lgkmcnt(0)
	s_barrier
	s_cbranch_scc1 .LBB141_1
; %bb.2:
	s_add_u32 s0, s0, s2
	s_addc_u32 s1, s1, s3
	v_lshlrev_b32_e32 v0, 3, v1
	global_store_dwordx4 v0, v[2:5], s[0:1]
	global_store_dwordx4 v0, v[6:9], s[0:1] offset:16
	s_endpgm
	.section	.rodata,"a",@progbits
	.p2align	6, 0x0
	.amdhsa_kernel _Z6kernelI18scatter_to_blockedN15benchmark_utils11custom_typeIffEELj256ELj4ELj100EEvPKT0_PKjPS4_
		.amdhsa_group_segment_fixed_size 8448
		.amdhsa_private_segment_fixed_size 0
		.amdhsa_kernarg_size 24
		.amdhsa_user_sgpr_count 6
		.amdhsa_user_sgpr_private_segment_buffer 1
		.amdhsa_user_sgpr_dispatch_ptr 0
		.amdhsa_user_sgpr_queue_ptr 0
		.amdhsa_user_sgpr_kernarg_segment_ptr 1
		.amdhsa_user_sgpr_dispatch_id 0
		.amdhsa_user_sgpr_flat_scratch_init 0
		.amdhsa_user_sgpr_kernarg_preload_length 0
		.amdhsa_user_sgpr_kernarg_preload_offset 0
		.amdhsa_user_sgpr_private_segment_size 0
		.amdhsa_uses_dynamic_stack 0
		.amdhsa_system_sgpr_private_segment_wavefront_offset 0
		.amdhsa_system_sgpr_workgroup_id_x 1
		.amdhsa_system_sgpr_workgroup_id_y 0
		.amdhsa_system_sgpr_workgroup_id_z 0
		.amdhsa_system_sgpr_workgroup_info 0
		.amdhsa_system_vgpr_workitem_id 0
		.amdhsa_next_free_vgpr 18
		.amdhsa_next_free_sgpr 12
		.amdhsa_accum_offset 20
		.amdhsa_reserve_vcc 1
		.amdhsa_reserve_flat_scratch 0
		.amdhsa_float_round_mode_32 0
		.amdhsa_float_round_mode_16_64 0
		.amdhsa_float_denorm_mode_32 3
		.amdhsa_float_denorm_mode_16_64 3
		.amdhsa_dx10_clamp 1
		.amdhsa_ieee_mode 1
		.amdhsa_fp16_overflow 0
		.amdhsa_tg_split 0
		.amdhsa_exception_fp_ieee_invalid_op 0
		.amdhsa_exception_fp_denorm_src 0
		.amdhsa_exception_fp_ieee_div_zero 0
		.amdhsa_exception_fp_ieee_overflow 0
		.amdhsa_exception_fp_ieee_underflow 0
		.amdhsa_exception_fp_ieee_inexact 0
		.amdhsa_exception_int_div_zero 0
	.end_amdhsa_kernel
	.section	.text._Z6kernelI18scatter_to_blockedN15benchmark_utils11custom_typeIffEELj256ELj4ELj100EEvPKT0_PKjPS4_,"axG",@progbits,_Z6kernelI18scatter_to_blockedN15benchmark_utils11custom_typeIffEELj256ELj4ELj100EEvPKT0_PKjPS4_,comdat
.Lfunc_end141:
	.size	_Z6kernelI18scatter_to_blockedN15benchmark_utils11custom_typeIffEELj256ELj4ELj100EEvPKT0_PKjPS4_, .Lfunc_end141-_Z6kernelI18scatter_to_blockedN15benchmark_utils11custom_typeIffEELj256ELj4ELj100EEvPKT0_PKjPS4_
                                        ; -- End function
	.section	.AMDGPU.csdata,"",@progbits
; Kernel info:
; codeLenInByte = 384
; NumSgprs: 16
; NumVgprs: 18
; NumAgprs: 0
; TotalNumVgprs: 18
; ScratchSize: 0
; MemoryBound: 0
; FloatMode: 240
; IeeeMode: 1
; LDSByteSize: 8448 bytes/workgroup (compile time only)
; SGPRBlocks: 1
; VGPRBlocks: 2
; NumSGPRsForWavesPerEU: 16
; NumVGPRsForWavesPerEU: 18
; AccumOffset: 20
; Occupancy: 7
; WaveLimiterHint : 1
; COMPUTE_PGM_RSRC2:SCRATCH_EN: 0
; COMPUTE_PGM_RSRC2:USER_SGPR: 6
; COMPUTE_PGM_RSRC2:TRAP_HANDLER: 0
; COMPUTE_PGM_RSRC2:TGID_X_EN: 1
; COMPUTE_PGM_RSRC2:TGID_Y_EN: 0
; COMPUTE_PGM_RSRC2:TGID_Z_EN: 0
; COMPUTE_PGM_RSRC2:TIDIG_COMP_CNT: 0
; COMPUTE_PGM_RSRC3_GFX90A:ACCUM_OFFSET: 4
; COMPUTE_PGM_RSRC3_GFX90A:TG_SPLIT: 0
	.section	.text._Z6kernelI18scatter_to_blockedN15benchmark_utils11custom_typeIffEELj256ELj7ELj100EEvPKT0_PKjPS4_,"axG",@progbits,_Z6kernelI18scatter_to_blockedN15benchmark_utils11custom_typeIffEELj256ELj7ELj100EEvPKT0_PKjPS4_,comdat
	.protected	_Z6kernelI18scatter_to_blockedN15benchmark_utils11custom_typeIffEELj256ELj7ELj100EEvPKT0_PKjPS4_ ; -- Begin function _Z6kernelI18scatter_to_blockedN15benchmark_utils11custom_typeIffEELj256ELj7ELj100EEvPKT0_PKjPS4_
	.globl	_Z6kernelI18scatter_to_blockedN15benchmark_utils11custom_typeIffEELj256ELj7ELj100EEvPKT0_PKjPS4_
	.p2align	8
	.type	_Z6kernelI18scatter_to_blockedN15benchmark_utils11custom_typeIffEELj256ELj7ELj100EEvPKT0_PKjPS4_,@function
_Z6kernelI18scatter_to_blockedN15benchmark_utils11custom_typeIffEELj256ELj7ELj100EEvPKT0_PKjPS4_: ; @_Z6kernelI18scatter_to_blockedN15benchmark_utils11custom_typeIffEELj256ELj7ELj100EEvPKT0_PKjPS4_
; %bb.0:
	s_load_dwordx4 s[8:11], s[4:5], 0x0
	s_load_dwordx2 s[0:1], s[4:5], 0x10
	s_mul_i32 s4, s6, 0x700
	s_mov_b32 s5, 0
	s_lshl_b64 s[2:3], s[4:5], 3
	s_waitcnt lgkmcnt(0)
	s_add_u32 s6, s8, s2
	s_addc_u32 s7, s9, s3
	v_lshlrev_b32_e32 v1, 3, v0
	v_mov_b32_e32 v2, s7
	v_add_co_u32_e32 v10, vcc, s6, v1
	v_addc_co_u32_e32 v11, vcc, 0, v2, vcc
	s_movk_i32 s8, 0x1000
	v_add_co_u32_e32 v16, vcc, s8, v10
	v_addc_co_u32_e32 v17, vcc, 0, v11, vcc
	s_movk_i32 s9, 0x2000
	;; [unrolled: 3-line block ×3, first 2 shown]
	s_lshl_b64 s[4:5], s[4:5], 2
	v_add_co_u32_e32 v18, vcc, s9, v10
	s_add_u32 s4, s10, s4
	global_load_dwordx2 v[2:3], v[4:5], off offset:-4096
	global_load_dwordx2 v[6:7], v[4:5], off
	global_load_dwordx2 v[8:9], v[4:5], off offset:2048
	v_addc_co_u32_e32 v19, vcc, 0, v11, vcc
	s_addc_u32 s5, s11, s5
	v_lshlrev_b32_e32 v22, 2, v0
	v_mov_b32_e32 v4, s5
	v_add_co_u32_e32 v5, vcc, s4, v22
	v_addc_co_u32_e32 v4, vcc, 0, v4, vcc
	v_add_co_u32_e32 v20, vcc, s8, v5
	v_addc_co_u32_e32 v21, vcc, 0, v4, vcc
	global_load_dword v23, v22, s[4:5]
	global_load_dword v24, v22, s[4:5] offset:1024
	global_load_dword v25, v22, s[4:5] offset:2048
	;; [unrolled: 1-line block ×3, first 2 shown]
	global_load_dword v27, v[20:21], off
	global_load_dword v28, v[20:21], off offset:1024
	global_load_dword v29, v[20:21], off offset:2048
	global_load_dwordx2 v[10:11], v1, s[6:7]
	global_load_dwordx2 v[12:13], v1, s[6:7] offset:2048
	global_load_dwordx2 v[4:5], v[16:17], off offset:2048
	global_load_dwordx2 v[14:15], v[18:19], off
	v_mul_u32_u24_e32 v0, 7, v0
	v_lshlrev_b32_e32 v0, 3, v0
	s_movk_i32 s4, 0x64
	s_waitcnt vmcnt(10)
	v_lshlrev_b32_e32 v1, 3, v23
	s_waitcnt vmcnt(9)
	v_lshlrev_b32_e32 v16, 3, v24
	;; [unrolled: 2-line block ×7, first 2 shown]
.LBB142_1:                              ; =>This Inner Loop Header: Depth=1
	s_waitcnt vmcnt(3)
	ds_write_b64 v1, v[10:11]
	s_waitcnt vmcnt(2)
	ds_write_b64 v16, v[12:13]
	ds_write_b64 v17, v[2:3]
	s_waitcnt vmcnt(1)
	ds_write_b64 v18, v[4:5]
	ds_write_b64 v19, v[6:7]
	;; [unrolled: 1-line block ×3, first 2 shown]
	s_waitcnt vmcnt(0)
	ds_write_b64 v21, v[14:15]
	s_waitcnt lgkmcnt(0)
	s_barrier
	ds_read2_b64 v[10:13], v0 offset1:1
	ds_read2_b64 v[2:5], v0 offset0:2 offset1:3
	ds_read2_b64 v[6:9], v0 offset0:4 offset1:5
	ds_read_b64 v[14:15], v0 offset:48
	s_add_i32 s4, s4, -1
	s_cmp_lg_u32 s4, 0
	s_waitcnt lgkmcnt(0)
	s_barrier
	s_cbranch_scc1 .LBB142_1
; %bb.2:
	s_add_u32 s0, s0, s2
	s_addc_u32 s1, s1, s3
	global_store_dwordx4 v0, v[10:13], s[0:1]
	global_store_dwordx4 v0, v[2:5], s[0:1] offset:16
	global_store_dwordx4 v0, v[6:9], s[0:1] offset:32
	global_store_dwordx2 v0, v[14:15], s[0:1] offset:48
	s_endpgm
	.section	.rodata,"a",@progbits
	.p2align	6, 0x0
	.amdhsa_kernel _Z6kernelI18scatter_to_blockedN15benchmark_utils11custom_typeIffEELj256ELj7ELj100EEvPKT0_PKjPS4_
		.amdhsa_group_segment_fixed_size 14336
		.amdhsa_private_segment_fixed_size 0
		.amdhsa_kernarg_size 24
		.amdhsa_user_sgpr_count 6
		.amdhsa_user_sgpr_private_segment_buffer 1
		.amdhsa_user_sgpr_dispatch_ptr 0
		.amdhsa_user_sgpr_queue_ptr 0
		.amdhsa_user_sgpr_kernarg_segment_ptr 1
		.amdhsa_user_sgpr_dispatch_id 0
		.amdhsa_user_sgpr_flat_scratch_init 0
		.amdhsa_user_sgpr_kernarg_preload_length 0
		.amdhsa_user_sgpr_kernarg_preload_offset 0
		.amdhsa_user_sgpr_private_segment_size 0
		.amdhsa_uses_dynamic_stack 0
		.amdhsa_system_sgpr_private_segment_wavefront_offset 0
		.amdhsa_system_sgpr_workgroup_id_x 1
		.amdhsa_system_sgpr_workgroup_id_y 0
		.amdhsa_system_sgpr_workgroup_id_z 0
		.amdhsa_system_sgpr_workgroup_info 0
		.amdhsa_system_vgpr_workitem_id 0
		.amdhsa_next_free_vgpr 30
		.amdhsa_next_free_sgpr 12
		.amdhsa_accum_offset 32
		.amdhsa_reserve_vcc 1
		.amdhsa_reserve_flat_scratch 0
		.amdhsa_float_round_mode_32 0
		.amdhsa_float_round_mode_16_64 0
		.amdhsa_float_denorm_mode_32 3
		.amdhsa_float_denorm_mode_16_64 3
		.amdhsa_dx10_clamp 1
		.amdhsa_ieee_mode 1
		.amdhsa_fp16_overflow 0
		.amdhsa_tg_split 0
		.amdhsa_exception_fp_ieee_invalid_op 0
		.amdhsa_exception_fp_denorm_src 0
		.amdhsa_exception_fp_ieee_div_zero 0
		.amdhsa_exception_fp_ieee_overflow 0
		.amdhsa_exception_fp_ieee_underflow 0
		.amdhsa_exception_fp_ieee_inexact 0
		.amdhsa_exception_int_div_zero 0
	.end_amdhsa_kernel
	.section	.text._Z6kernelI18scatter_to_blockedN15benchmark_utils11custom_typeIffEELj256ELj7ELj100EEvPKT0_PKjPS4_,"axG",@progbits,_Z6kernelI18scatter_to_blockedN15benchmark_utils11custom_typeIffEELj256ELj7ELj100EEvPKT0_PKjPS4_,comdat
.Lfunc_end142:
	.size	_Z6kernelI18scatter_to_blockedN15benchmark_utils11custom_typeIffEELj256ELj7ELj100EEvPKT0_PKjPS4_, .Lfunc_end142-_Z6kernelI18scatter_to_blockedN15benchmark_utils11custom_typeIffEELj256ELj7ELj100EEvPKT0_PKjPS4_
                                        ; -- End function
	.section	.AMDGPU.csdata,"",@progbits
; Kernel info:
; codeLenInByte = 488
; NumSgprs: 16
; NumVgprs: 30
; NumAgprs: 0
; TotalNumVgprs: 30
; ScratchSize: 0
; MemoryBound: 0
; FloatMode: 240
; IeeeMode: 1
; LDSByteSize: 14336 bytes/workgroup (compile time only)
; SGPRBlocks: 1
; VGPRBlocks: 3
; NumSGPRsForWavesPerEU: 16
; NumVGPRsForWavesPerEU: 30
; AccumOffset: 32
; Occupancy: 4
; WaveLimiterHint : 1
; COMPUTE_PGM_RSRC2:SCRATCH_EN: 0
; COMPUTE_PGM_RSRC2:USER_SGPR: 6
; COMPUTE_PGM_RSRC2:TRAP_HANDLER: 0
; COMPUTE_PGM_RSRC2:TGID_X_EN: 1
; COMPUTE_PGM_RSRC2:TGID_Y_EN: 0
; COMPUTE_PGM_RSRC2:TGID_Z_EN: 0
; COMPUTE_PGM_RSRC2:TIDIG_COMP_CNT: 0
; COMPUTE_PGM_RSRC3_GFX90A:ACCUM_OFFSET: 7
; COMPUTE_PGM_RSRC3_GFX90A:TG_SPLIT: 0
	.section	.text._Z6kernelI18scatter_to_blockedN15benchmark_utils11custom_typeIffEELj256ELj8ELj100EEvPKT0_PKjPS4_,"axG",@progbits,_Z6kernelI18scatter_to_blockedN15benchmark_utils11custom_typeIffEELj256ELj8ELj100EEvPKT0_PKjPS4_,comdat
	.protected	_Z6kernelI18scatter_to_blockedN15benchmark_utils11custom_typeIffEELj256ELj8ELj100EEvPKT0_PKjPS4_ ; -- Begin function _Z6kernelI18scatter_to_blockedN15benchmark_utils11custom_typeIffEELj256ELj8ELj100EEvPKT0_PKjPS4_
	.globl	_Z6kernelI18scatter_to_blockedN15benchmark_utils11custom_typeIffEELj256ELj8ELj100EEvPKT0_PKjPS4_
	.p2align	8
	.type	_Z6kernelI18scatter_to_blockedN15benchmark_utils11custom_typeIffEELj256ELj8ELj100EEvPKT0_PKjPS4_,@function
_Z6kernelI18scatter_to_blockedN15benchmark_utils11custom_typeIffEELj256ELj8ELj100EEvPKT0_PKjPS4_: ; @_Z6kernelI18scatter_to_blockedN15benchmark_utils11custom_typeIffEELj256ELj8ELj100EEvPKT0_PKjPS4_
; %bb.0:
	s_load_dwordx4 s[0:3], s[4:5], 0x0
	s_load_dwordx2 s[8:9], s[4:5], 0x10
	s_lshl_b32 s6, s6, 11
	s_mov_b32 s7, 0
	s_lshl_b64 s[4:5], s[6:7], 3
	s_waitcnt lgkmcnt(0)
	s_add_u32 s0, s0, s4
	s_addc_u32 s1, s1, s5
	v_lshlrev_b32_e32 v1, 3, v0
	v_mov_b32_e32 v2, s1
	v_add_co_u32_e32 v16, vcc, s0, v1
	v_addc_co_u32_e32 v17, vcc, 0, v2, vcc
	s_movk_i32 s10, 0x1000
	v_add_co_u32_e32 v18, vcc, s10, v16
	global_load_dwordx2 v[2:3], v1, s[0:1]
	global_load_dwordx2 v[4:5], v1, s[0:1] offset:2048
	v_addc_co_u32_e32 v19, vcc, 0, v17, vcc
	s_movk_i32 s0, 0x2000
	v_add_co_u32_e32 v8, vcc, s0, v16
	s_lshl_b64 s[0:1], s[6:7], 2
	s_add_u32 s0, s2, s0
	v_addc_co_u32_e32 v9, vcc, 0, v17, vcc
	s_addc_u32 s1, s3, s1
	v_lshlrev_b32_e32 v6, 2, v0
	v_mov_b32_e32 v7, s1
	global_load_dword v22, v6, s[0:1]
	global_load_dword v23, v6, s[0:1] offset:1024
	global_load_dword v24, v6, s[0:1] offset:2048
	;; [unrolled: 1-line block ×3, first 2 shown]
	v_add_co_u32_e32 v6, vcc, s0, v6
	v_addc_co_u32_e32 v7, vcc, 0, v7, vcc
	v_add_co_u32_e32 v14, vcc, s10, v6
	v_addc_co_u32_e32 v15, vcc, 0, v7, vcc
	s_movk_i32 s0, 0x3000
	v_add_co_u32_e32 v20, vcc, s0, v16
	global_load_dword v26, v[14:15], off
	global_load_dword v27, v[14:15], off offset:1024
	global_load_dword v28, v[14:15], off offset:2048
	;; [unrolled: 1-line block ×3, first 2 shown]
	global_load_dwordx2 v[6:7], v[8:9], off offset:-4096
	global_load_dwordx2 v[10:11], v[8:9], off
	global_load_dwordx2 v[12:13], v[8:9], off offset:2048
	v_addc_co_u32_e32 v21, vcc, 0, v17, vcc
	global_load_dwordx2 v[8:9], v[18:19], off offset:2048
	global_load_dwordx2 v[14:15], v[20:21], off
	global_load_dwordx2 v[16:17], v[20:21], off offset:2048
	v_lshrrev_b32_e32 v0, 2, v0
	v_add_lshl_u32 v0, v0, v1, 3
	s_movk_i32 s0, 0x64
	s_waitcnt vmcnt(13)
	v_lshrrev_b32_e32 v18, 2, v22
	s_waitcnt vmcnt(12)
	v_lshrrev_b32_e32 v19, 2, v23
	;; [unrolled: 2-line block ×4, first 2 shown]
	v_and_b32_e32 v18, 0x3ffffff8, v18
	v_and_b32_e32 v19, 0x3ffffff8, v19
	v_and_b32_e32 v20, 0x3ffffff8, v20
	v_and_b32_e32 v21, 0x3ffffff8, v21
	v_lshl_add_u32 v18, v22, 3, v18
	v_lshl_add_u32 v19, v23, 3, v19
	;; [unrolled: 1-line block ×4, first 2 shown]
	s_waitcnt vmcnt(9)
	v_lshrrev_b32_e32 v22, 2, v26
	s_waitcnt vmcnt(8)
	v_lshrrev_b32_e32 v23, 2, v27
	;; [unrolled: 2-line block ×4, first 2 shown]
	v_and_b32_e32 v22, 0x3ffffff8, v22
	v_and_b32_e32 v23, 0x3ffffff8, v23
	;; [unrolled: 1-line block ×4, first 2 shown]
	v_lshl_add_u32 v22, v26, 3, v22
	v_lshl_add_u32 v23, v27, 3, v23
	;; [unrolled: 1-line block ×4, first 2 shown]
.LBB143_1:                              ; =>This Inner Loop Header: Depth=1
	ds_write_b64 v18, v[2:3]
	ds_write_b64 v19, v[4:5]
	s_waitcnt vmcnt(5)
	ds_write_b64 v20, v[6:7]
	s_waitcnt vmcnt(2)
	ds_write_b64 v21, v[8:9]
	ds_write_b64 v22, v[10:11]
	ds_write_b64 v23, v[12:13]
	s_waitcnt vmcnt(1)
	ds_write_b64 v24, v[14:15]
	s_waitcnt vmcnt(0)
	ds_write_b64 v25, v[16:17]
	s_waitcnt lgkmcnt(0)
	s_barrier
	ds_read2_b64 v[2:5], v0 offset1:1
	ds_read2_b64 v[6:9], v0 offset0:2 offset1:3
	ds_read2_b64 v[10:13], v0 offset0:4 offset1:5
	;; [unrolled: 1-line block ×3, first 2 shown]
	s_add_i32 s0, s0, -1
	s_cmp_lg_u32 s0, 0
	s_waitcnt lgkmcnt(0)
	s_barrier
	s_cbranch_scc1 .LBB143_1
; %bb.2:
	s_add_u32 s0, s8, s4
	s_addc_u32 s1, s9, s5
	v_lshlrev_b32_e32 v0, 3, v1
	global_store_dwordx4 v0, v[2:5], s[0:1]
	global_store_dwordx4 v0, v[6:9], s[0:1] offset:16
	global_store_dwordx4 v0, v[10:13], s[0:1] offset:32
	;; [unrolled: 1-line block ×3, first 2 shown]
	s_endpgm
	.section	.rodata,"a",@progbits
	.p2align	6, 0x0
	.amdhsa_kernel _Z6kernelI18scatter_to_blockedN15benchmark_utils11custom_typeIffEELj256ELj8ELj100EEvPKT0_PKjPS4_
		.amdhsa_group_segment_fixed_size 16896
		.amdhsa_private_segment_fixed_size 0
		.amdhsa_kernarg_size 24
		.amdhsa_user_sgpr_count 6
		.amdhsa_user_sgpr_private_segment_buffer 1
		.amdhsa_user_sgpr_dispatch_ptr 0
		.amdhsa_user_sgpr_queue_ptr 0
		.amdhsa_user_sgpr_kernarg_segment_ptr 1
		.amdhsa_user_sgpr_dispatch_id 0
		.amdhsa_user_sgpr_flat_scratch_init 0
		.amdhsa_user_sgpr_kernarg_preload_length 0
		.amdhsa_user_sgpr_kernarg_preload_offset 0
		.amdhsa_user_sgpr_private_segment_size 0
		.amdhsa_uses_dynamic_stack 0
		.amdhsa_system_sgpr_private_segment_wavefront_offset 0
		.amdhsa_system_sgpr_workgroup_id_x 1
		.amdhsa_system_sgpr_workgroup_id_y 0
		.amdhsa_system_sgpr_workgroup_id_z 0
		.amdhsa_system_sgpr_workgroup_info 0
		.amdhsa_system_vgpr_workitem_id 0
		.amdhsa_next_free_vgpr 30
		.amdhsa_next_free_sgpr 11
		.amdhsa_accum_offset 32
		.amdhsa_reserve_vcc 1
		.amdhsa_reserve_flat_scratch 0
		.amdhsa_float_round_mode_32 0
		.amdhsa_float_round_mode_16_64 0
		.amdhsa_float_denorm_mode_32 3
		.amdhsa_float_denorm_mode_16_64 3
		.amdhsa_dx10_clamp 1
		.amdhsa_ieee_mode 1
		.amdhsa_fp16_overflow 0
		.amdhsa_tg_split 0
		.amdhsa_exception_fp_ieee_invalid_op 0
		.amdhsa_exception_fp_denorm_src 0
		.amdhsa_exception_fp_ieee_div_zero 0
		.amdhsa_exception_fp_ieee_overflow 0
		.amdhsa_exception_fp_ieee_underflow 0
		.amdhsa_exception_fp_ieee_inexact 0
		.amdhsa_exception_int_div_zero 0
	.end_amdhsa_kernel
	.section	.text._Z6kernelI18scatter_to_blockedN15benchmark_utils11custom_typeIffEELj256ELj8ELj100EEvPKT0_PKjPS4_,"axG",@progbits,_Z6kernelI18scatter_to_blockedN15benchmark_utils11custom_typeIffEELj256ELj8ELj100EEvPKT0_PKjPS4_,comdat
.Lfunc_end143:
	.size	_Z6kernelI18scatter_to_blockedN15benchmark_utils11custom_typeIffEELj256ELj8ELj100EEvPKT0_PKjPS4_, .Lfunc_end143-_Z6kernelI18scatter_to_blockedN15benchmark_utils11custom_typeIffEELj256ELj8ELj100EEvPKT0_PKjPS4_
                                        ; -- End function
	.section	.AMDGPU.csdata,"",@progbits
; Kernel info:
; codeLenInByte = 652
; NumSgprs: 15
; NumVgprs: 30
; NumAgprs: 0
; TotalNumVgprs: 30
; ScratchSize: 0
; MemoryBound: 0
; FloatMode: 240
; IeeeMode: 1
; LDSByteSize: 16896 bytes/workgroup (compile time only)
; SGPRBlocks: 1
; VGPRBlocks: 3
; NumSGPRsForWavesPerEU: 15
; NumVGPRsForWavesPerEU: 30
; AccumOffset: 32
; Occupancy: 3
; WaveLimiterHint : 1
; COMPUTE_PGM_RSRC2:SCRATCH_EN: 0
; COMPUTE_PGM_RSRC2:USER_SGPR: 6
; COMPUTE_PGM_RSRC2:TRAP_HANDLER: 0
; COMPUTE_PGM_RSRC2:TGID_X_EN: 1
; COMPUTE_PGM_RSRC2:TGID_Y_EN: 0
; COMPUTE_PGM_RSRC2:TGID_Z_EN: 0
; COMPUTE_PGM_RSRC2:TIDIG_COMP_CNT: 0
; COMPUTE_PGM_RSRC3_GFX90A:ACCUM_OFFSET: 7
; COMPUTE_PGM_RSRC3_GFX90A:TG_SPLIT: 0
	.section	.text._Z6kernelI18scatter_to_blockedN15benchmark_utils11custom_typeIddEELj256ELj1ELj100EEvPKT0_PKjPS4_,"axG",@progbits,_Z6kernelI18scatter_to_blockedN15benchmark_utils11custom_typeIddEELj256ELj1ELj100EEvPKT0_PKjPS4_,comdat
	.protected	_Z6kernelI18scatter_to_blockedN15benchmark_utils11custom_typeIddEELj256ELj1ELj100EEvPKT0_PKjPS4_ ; -- Begin function _Z6kernelI18scatter_to_blockedN15benchmark_utils11custom_typeIddEELj256ELj1ELj100EEvPKT0_PKjPS4_
	.globl	_Z6kernelI18scatter_to_blockedN15benchmark_utils11custom_typeIddEELj256ELj1ELj100EEvPKT0_PKjPS4_
	.p2align	8
	.type	_Z6kernelI18scatter_to_blockedN15benchmark_utils11custom_typeIddEELj256ELj1ELj100EEvPKT0_PKjPS4_,@function
_Z6kernelI18scatter_to_blockedN15benchmark_utils11custom_typeIddEELj256ELj1ELj100EEvPKT0_PKjPS4_: ; @_Z6kernelI18scatter_to_blockedN15benchmark_utils11custom_typeIddEELj256ELj1ELj100EEvPKT0_PKjPS4_
; %bb.0:
	s_load_dwordx4 s[8:11], s[4:5], 0x0
	s_load_dwordx2 s[0:1], s[4:5], 0x10
	s_lshl_b32 s4, s6, 8
	s_mov_b32 s5, 0
	s_lshl_b64 s[2:3], s[4:5], 4
	s_waitcnt lgkmcnt(0)
	s_add_u32 s6, s8, s2
	s_addc_u32 s7, s9, s3
	s_lshl_b64 s[4:5], s[4:5], 2
	s_add_u32 s4, s10, s4
	s_addc_u32 s5, s11, s5
	v_lshlrev_b32_e32 v1, 2, v0
	global_load_dword v6, v1, s[4:5]
	v_lshlrev_b32_e32 v1, 4, v0
	global_load_dwordx4 v[2:5], v1, s[6:7]
	s_movk_i32 s4, 0x64
	s_waitcnt vmcnt(1)
	v_lshlrev_b32_e32 v6, 4, v6
.LBB144_1:                              ; =>This Inner Loop Header: Depth=1
	s_waitcnt vmcnt(0)
	ds_write_b128 v6, v[2:5]
	s_waitcnt lgkmcnt(0)
	s_barrier
	ds_read_b128 v[2:5], v1
	s_add_i32 s4, s4, -1
	s_cmp_lg_u32 s4, 0
	s_waitcnt lgkmcnt(0)
	s_barrier
	s_cbranch_scc1 .LBB144_1
; %bb.2:
	s_add_u32 s0, s0, s2
	s_addc_u32 s1, s1, s3
	v_lshlrev_b32_e32 v0, 4, v0
	global_store_dwordx4 v0, v[2:5], s[0:1]
	s_endpgm
	.section	.rodata,"a",@progbits
	.p2align	6, 0x0
	.amdhsa_kernel _Z6kernelI18scatter_to_blockedN15benchmark_utils11custom_typeIddEELj256ELj1ELj100EEvPKT0_PKjPS4_
		.amdhsa_group_segment_fixed_size 4096
		.amdhsa_private_segment_fixed_size 0
		.amdhsa_kernarg_size 24
		.amdhsa_user_sgpr_count 6
		.amdhsa_user_sgpr_private_segment_buffer 1
		.amdhsa_user_sgpr_dispatch_ptr 0
		.amdhsa_user_sgpr_queue_ptr 0
		.amdhsa_user_sgpr_kernarg_segment_ptr 1
		.amdhsa_user_sgpr_dispatch_id 0
		.amdhsa_user_sgpr_flat_scratch_init 0
		.amdhsa_user_sgpr_kernarg_preload_length 0
		.amdhsa_user_sgpr_kernarg_preload_offset 0
		.amdhsa_user_sgpr_private_segment_size 0
		.amdhsa_uses_dynamic_stack 0
		.amdhsa_system_sgpr_private_segment_wavefront_offset 0
		.amdhsa_system_sgpr_workgroup_id_x 1
		.amdhsa_system_sgpr_workgroup_id_y 0
		.amdhsa_system_sgpr_workgroup_id_z 0
		.amdhsa_system_sgpr_workgroup_info 0
		.amdhsa_system_vgpr_workitem_id 0
		.amdhsa_next_free_vgpr 7
		.amdhsa_next_free_sgpr 12
		.amdhsa_accum_offset 8
		.amdhsa_reserve_vcc 0
		.amdhsa_reserve_flat_scratch 0
		.amdhsa_float_round_mode_32 0
		.amdhsa_float_round_mode_16_64 0
		.amdhsa_float_denorm_mode_32 3
		.amdhsa_float_denorm_mode_16_64 3
		.amdhsa_dx10_clamp 1
		.amdhsa_ieee_mode 1
		.amdhsa_fp16_overflow 0
		.amdhsa_tg_split 0
		.amdhsa_exception_fp_ieee_invalid_op 0
		.amdhsa_exception_fp_denorm_src 0
		.amdhsa_exception_fp_ieee_div_zero 0
		.amdhsa_exception_fp_ieee_overflow 0
		.amdhsa_exception_fp_ieee_underflow 0
		.amdhsa_exception_fp_ieee_inexact 0
		.amdhsa_exception_int_div_zero 0
	.end_amdhsa_kernel
	.section	.text._Z6kernelI18scatter_to_blockedN15benchmark_utils11custom_typeIddEELj256ELj1ELj100EEvPKT0_PKjPS4_,"axG",@progbits,_Z6kernelI18scatter_to_blockedN15benchmark_utils11custom_typeIddEELj256ELj1ELj100EEvPKT0_PKjPS4_,comdat
.Lfunc_end144:
	.size	_Z6kernelI18scatter_to_blockedN15benchmark_utils11custom_typeIddEELj256ELj1ELj100EEvPKT0_PKjPS4_, .Lfunc_end144-_Z6kernelI18scatter_to_blockedN15benchmark_utils11custom_typeIddEELj256ELj1ELj100EEvPKT0_PKjPS4_
                                        ; -- End function
	.section	.AMDGPU.csdata,"",@progbits
; Kernel info:
; codeLenInByte = 160
; NumSgprs: 16
; NumVgprs: 7
; NumAgprs: 0
; TotalNumVgprs: 7
; ScratchSize: 0
; MemoryBound: 0
; FloatMode: 240
; IeeeMode: 1
; LDSByteSize: 4096 bytes/workgroup (compile time only)
; SGPRBlocks: 1
; VGPRBlocks: 0
; NumSGPRsForWavesPerEU: 16
; NumVGPRsForWavesPerEU: 7
; AccumOffset: 8
; Occupancy: 8
; WaveLimiterHint : 0
; COMPUTE_PGM_RSRC2:SCRATCH_EN: 0
; COMPUTE_PGM_RSRC2:USER_SGPR: 6
; COMPUTE_PGM_RSRC2:TRAP_HANDLER: 0
; COMPUTE_PGM_RSRC2:TGID_X_EN: 1
; COMPUTE_PGM_RSRC2:TGID_Y_EN: 0
; COMPUTE_PGM_RSRC2:TGID_Z_EN: 0
; COMPUTE_PGM_RSRC2:TIDIG_COMP_CNT: 0
; COMPUTE_PGM_RSRC3_GFX90A:ACCUM_OFFSET: 1
; COMPUTE_PGM_RSRC3_GFX90A:TG_SPLIT: 0
	.section	.text._Z6kernelI18scatter_to_blockedN15benchmark_utils11custom_typeIddEELj256ELj2ELj100EEvPKT0_PKjPS4_,"axG",@progbits,_Z6kernelI18scatter_to_blockedN15benchmark_utils11custom_typeIddEELj256ELj2ELj100EEvPKT0_PKjPS4_,comdat
	.protected	_Z6kernelI18scatter_to_blockedN15benchmark_utils11custom_typeIddEELj256ELj2ELj100EEvPKT0_PKjPS4_ ; -- Begin function _Z6kernelI18scatter_to_blockedN15benchmark_utils11custom_typeIddEELj256ELj2ELj100EEvPKT0_PKjPS4_
	.globl	_Z6kernelI18scatter_to_blockedN15benchmark_utils11custom_typeIddEELj256ELj2ELj100EEvPKT0_PKjPS4_
	.p2align	8
	.type	_Z6kernelI18scatter_to_blockedN15benchmark_utils11custom_typeIddEELj256ELj2ELj100EEvPKT0_PKjPS4_,@function
_Z6kernelI18scatter_to_blockedN15benchmark_utils11custom_typeIddEELj256ELj2ELj100EEvPKT0_PKjPS4_: ; @_Z6kernelI18scatter_to_blockedN15benchmark_utils11custom_typeIddEELj256ELj2ELj100EEvPKT0_PKjPS4_
; %bb.0:
	s_load_dwordx4 s[0:3], s[4:5], 0x0
	s_load_dwordx2 s[8:9], s[4:5], 0x10
	s_lshl_b32 s6, s6, 9
	s_mov_b32 s7, 0
	s_lshl_b64 s[4:5], s[6:7], 4
	s_waitcnt lgkmcnt(0)
	s_add_u32 s0, s0, s4
	s_addc_u32 s1, s1, s5
	s_lshl_b64 s[6:7], s[6:7], 2
	s_add_u32 s2, s2, s6
	v_lshlrev_b32_e32 v1, 4, v0
	s_addc_u32 s3, s3, s7
	v_lshlrev_b32_e32 v4, 2, v0
	v_mov_b32_e32 v2, s1
	v_add_co_u32_e32 v3, vcc, s0, v1
	global_load_dword v12, v4, s[2:3]
	global_load_dword v13, v4, s[2:3] offset:1024
	v_addc_co_u32_e32 v2, vcc, 0, v2, vcc
	s_movk_i32 s10, 0x1000
	v_add_co_u32_e32 v10, vcc, s10, v3
	v_addc_co_u32_e32 v11, vcc, 0, v2, vcc
	global_load_dwordx4 v[6:9], v1, s[0:1]
	global_load_dwordx4 v[2:5], v[10:11], off
	v_lshlrev_b32_e32 v1, 1, v0
	v_lshrrev_b32_e32 v0, 4, v0
	v_add_lshl_u32 v0, v0, v1, 4
	s_movk_i32 s0, 0x64
	s_waitcnt vmcnt(3)
	v_lshrrev_b32_e32 v10, 1, v12
	s_waitcnt vmcnt(2)
	v_lshrrev_b32_e32 v11, 1, v13
	v_and_b32_e32 v10, 0x7ffffff0, v10
	v_and_b32_e32 v11, 0x7ffffff0, v11
	v_lshl_add_u32 v10, v12, 4, v10
	v_lshl_add_u32 v11, v13, 4, v11
.LBB145_1:                              ; =>This Inner Loop Header: Depth=1
	s_waitcnt vmcnt(1)
	ds_write_b128 v10, v[6:9]
	s_waitcnt vmcnt(0)
	ds_write_b128 v11, v[2:5]
	s_waitcnt lgkmcnt(0)
	s_barrier
	ds_read_b128 v[6:9], v0
	ds_read_b128 v[2:5], v0 offset:16
	s_add_i32 s0, s0, -1
	s_cmp_lg_u32 s0, 0
	s_waitcnt lgkmcnt(0)
	s_barrier
	s_cbranch_scc1 .LBB145_1
; %bb.2:
	s_add_u32 s0, s8, s4
	s_addc_u32 s1, s9, s5
	v_lshlrev_b32_e32 v0, 4, v1
	global_store_dwordx4 v0, v[6:9], s[0:1]
	global_store_dwordx4 v0, v[2:5], s[0:1] offset:16
	s_endpgm
	.section	.rodata,"a",@progbits
	.p2align	6, 0x0
	.amdhsa_kernel _Z6kernelI18scatter_to_blockedN15benchmark_utils11custom_typeIddEELj256ELj2ELj100EEvPKT0_PKjPS4_
		.amdhsa_group_segment_fixed_size 8448
		.amdhsa_private_segment_fixed_size 0
		.amdhsa_kernarg_size 24
		.amdhsa_user_sgpr_count 6
		.amdhsa_user_sgpr_private_segment_buffer 1
		.amdhsa_user_sgpr_dispatch_ptr 0
		.amdhsa_user_sgpr_queue_ptr 0
		.amdhsa_user_sgpr_kernarg_segment_ptr 1
		.amdhsa_user_sgpr_dispatch_id 0
		.amdhsa_user_sgpr_flat_scratch_init 0
		.amdhsa_user_sgpr_kernarg_preload_length 0
		.amdhsa_user_sgpr_kernarg_preload_offset 0
		.amdhsa_user_sgpr_private_segment_size 0
		.amdhsa_uses_dynamic_stack 0
		.amdhsa_system_sgpr_private_segment_wavefront_offset 0
		.amdhsa_system_sgpr_workgroup_id_x 1
		.amdhsa_system_sgpr_workgroup_id_y 0
		.amdhsa_system_sgpr_workgroup_id_z 0
		.amdhsa_system_sgpr_workgroup_info 0
		.amdhsa_system_vgpr_workitem_id 0
		.amdhsa_next_free_vgpr 14
		.amdhsa_next_free_sgpr 11
		.amdhsa_accum_offset 16
		.amdhsa_reserve_vcc 1
		.amdhsa_reserve_flat_scratch 0
		.amdhsa_float_round_mode_32 0
		.amdhsa_float_round_mode_16_64 0
		.amdhsa_float_denorm_mode_32 3
		.amdhsa_float_denorm_mode_16_64 3
		.amdhsa_dx10_clamp 1
		.amdhsa_ieee_mode 1
		.amdhsa_fp16_overflow 0
		.amdhsa_tg_split 0
		.amdhsa_exception_fp_ieee_invalid_op 0
		.amdhsa_exception_fp_denorm_src 0
		.amdhsa_exception_fp_ieee_div_zero 0
		.amdhsa_exception_fp_ieee_overflow 0
		.amdhsa_exception_fp_ieee_underflow 0
		.amdhsa_exception_fp_ieee_inexact 0
		.amdhsa_exception_int_div_zero 0
	.end_amdhsa_kernel
	.section	.text._Z6kernelI18scatter_to_blockedN15benchmark_utils11custom_typeIddEELj256ELj2ELj100EEvPKT0_PKjPS4_,"axG",@progbits,_Z6kernelI18scatter_to_blockedN15benchmark_utils11custom_typeIddEELj256ELj2ELj100EEvPKT0_PKjPS4_,comdat
.Lfunc_end145:
	.size	_Z6kernelI18scatter_to_blockedN15benchmark_utils11custom_typeIddEELj256ELj2ELj100EEvPKT0_PKjPS4_, .Lfunc_end145-_Z6kernelI18scatter_to_blockedN15benchmark_utils11custom_typeIddEELj256ELj2ELj100EEvPKT0_PKjPS4_
                                        ; -- End function
	.section	.AMDGPU.csdata,"",@progbits
; Kernel info:
; codeLenInByte = 284
; NumSgprs: 15
; NumVgprs: 14
; NumAgprs: 0
; TotalNumVgprs: 14
; ScratchSize: 0
; MemoryBound: 0
; FloatMode: 240
; IeeeMode: 1
; LDSByteSize: 8448 bytes/workgroup (compile time only)
; SGPRBlocks: 1
; VGPRBlocks: 1
; NumSGPRsForWavesPerEU: 15
; NumVGPRsForWavesPerEU: 14
; AccumOffset: 16
; Occupancy: 7
; WaveLimiterHint : 1
; COMPUTE_PGM_RSRC2:SCRATCH_EN: 0
; COMPUTE_PGM_RSRC2:USER_SGPR: 6
; COMPUTE_PGM_RSRC2:TRAP_HANDLER: 0
; COMPUTE_PGM_RSRC2:TGID_X_EN: 1
; COMPUTE_PGM_RSRC2:TGID_Y_EN: 0
; COMPUTE_PGM_RSRC2:TGID_Z_EN: 0
; COMPUTE_PGM_RSRC2:TIDIG_COMP_CNT: 0
; COMPUTE_PGM_RSRC3_GFX90A:ACCUM_OFFSET: 3
; COMPUTE_PGM_RSRC3_GFX90A:TG_SPLIT: 0
	.section	.text._Z6kernelI18scatter_to_blockedN15benchmark_utils11custom_typeIddEELj256ELj3ELj100EEvPKT0_PKjPS4_,"axG",@progbits,_Z6kernelI18scatter_to_blockedN15benchmark_utils11custom_typeIddEELj256ELj3ELj100EEvPKT0_PKjPS4_,comdat
	.protected	_Z6kernelI18scatter_to_blockedN15benchmark_utils11custom_typeIddEELj256ELj3ELj100EEvPKT0_PKjPS4_ ; -- Begin function _Z6kernelI18scatter_to_blockedN15benchmark_utils11custom_typeIddEELj256ELj3ELj100EEvPKT0_PKjPS4_
	.globl	_Z6kernelI18scatter_to_blockedN15benchmark_utils11custom_typeIddEELj256ELj3ELj100EEvPKT0_PKjPS4_
	.p2align	8
	.type	_Z6kernelI18scatter_to_blockedN15benchmark_utils11custom_typeIddEELj256ELj3ELj100EEvPKT0_PKjPS4_,@function
_Z6kernelI18scatter_to_blockedN15benchmark_utils11custom_typeIddEELj256ELj3ELj100EEvPKT0_PKjPS4_: ; @_Z6kernelI18scatter_to_blockedN15benchmark_utils11custom_typeIddEELj256ELj3ELj100EEvPKT0_PKjPS4_
; %bb.0:
	s_load_dwordx4 s[0:3], s[4:5], 0x0
	s_load_dwordx2 s[8:9], s[4:5], 0x10
	s_mulk_i32 s6, 0x300
	s_mov_b32 s7, 0
	s_lshl_b64 s[4:5], s[6:7], 4
	s_waitcnt lgkmcnt(0)
	s_add_u32 s0, s0, s4
	s_addc_u32 s1, s1, s5
	v_lshlrev_b32_e32 v1, 4, v0
	v_mov_b32_e32 v2, s1
	v_add_co_u32_e32 v6, vcc, s0, v1
	v_addc_co_u32_e32 v7, vcc, 0, v2, vcc
	global_load_dwordx4 v[2:5], v1, s[0:1]
	s_movk_i32 s0, 0x2000
	v_add_co_u32_e32 v14, vcc, s0, v6
	s_lshl_b64 s[0:1], s[6:7], 2
	s_add_u32 s0, s2, s0
	s_addc_u32 s1, s3, s1
	v_lshlrev_b32_e32 v1, 2, v0
	v_addc_co_u32_e32 v15, vcc, 0, v7, vcc
	global_load_dword v16, v1, s[0:1]
	global_load_dword v17, v1, s[0:1] offset:1024
	global_load_dword v18, v1, s[0:1] offset:2048
	global_load_dwordx4 v[10:13], v[14:15], off offset:-4096
	global_load_dwordx4 v[6:9], v[14:15], off
	v_mul_u32_u24_e32 v0, 3, v0
	v_lshlrev_b32_e32 v0, 4, v0
	s_movk_i32 s0, 0x64
	s_waitcnt vmcnt(4)
	v_lshlrev_b32_e32 v1, 4, v16
	s_waitcnt vmcnt(3)
	v_lshlrev_b32_e32 v14, 4, v17
	;; [unrolled: 2-line block ×3, first 2 shown]
.LBB146_1:                              ; =>This Inner Loop Header: Depth=1
	ds_write_b128 v1, v[2:5]
	s_waitcnt vmcnt(1)
	ds_write_b128 v14, v[10:13]
	s_waitcnt vmcnt(0)
	ds_write_b128 v15, v[6:9]
	s_waitcnt lgkmcnt(0)
	s_barrier
	ds_read_b128 v[2:5], v0
	ds_read_b128 v[10:13], v0 offset:16
	ds_read_b128 v[6:9], v0 offset:32
	s_add_i32 s0, s0, -1
	s_cmp_lg_u32 s0, 0
	s_waitcnt lgkmcnt(0)
	s_barrier
	s_cbranch_scc1 .LBB146_1
; %bb.2:
	s_add_u32 s0, s8, s4
	s_addc_u32 s1, s9, s5
	global_store_dwordx4 v0, v[2:5], s[0:1]
	global_store_dwordx4 v0, v[10:13], s[0:1] offset:16
	global_store_dwordx4 v0, v[6:9], s[0:1] offset:32
	s_endpgm
	.section	.rodata,"a",@progbits
	.p2align	6, 0x0
	.amdhsa_kernel _Z6kernelI18scatter_to_blockedN15benchmark_utils11custom_typeIddEELj256ELj3ELj100EEvPKT0_PKjPS4_
		.amdhsa_group_segment_fixed_size 12288
		.amdhsa_private_segment_fixed_size 0
		.amdhsa_kernarg_size 24
		.amdhsa_user_sgpr_count 6
		.amdhsa_user_sgpr_private_segment_buffer 1
		.amdhsa_user_sgpr_dispatch_ptr 0
		.amdhsa_user_sgpr_queue_ptr 0
		.amdhsa_user_sgpr_kernarg_segment_ptr 1
		.amdhsa_user_sgpr_dispatch_id 0
		.amdhsa_user_sgpr_flat_scratch_init 0
		.amdhsa_user_sgpr_kernarg_preload_length 0
		.amdhsa_user_sgpr_kernarg_preload_offset 0
		.amdhsa_user_sgpr_private_segment_size 0
		.amdhsa_uses_dynamic_stack 0
		.amdhsa_system_sgpr_private_segment_wavefront_offset 0
		.amdhsa_system_sgpr_workgroup_id_x 1
		.amdhsa_system_sgpr_workgroup_id_y 0
		.amdhsa_system_sgpr_workgroup_id_z 0
		.amdhsa_system_sgpr_workgroup_info 0
		.amdhsa_system_vgpr_workitem_id 0
		.amdhsa_next_free_vgpr 19
		.amdhsa_next_free_sgpr 10
		.amdhsa_accum_offset 20
		.amdhsa_reserve_vcc 1
		.amdhsa_reserve_flat_scratch 0
		.amdhsa_float_round_mode_32 0
		.amdhsa_float_round_mode_16_64 0
		.amdhsa_float_denorm_mode_32 3
		.amdhsa_float_denorm_mode_16_64 3
		.amdhsa_dx10_clamp 1
		.amdhsa_ieee_mode 1
		.amdhsa_fp16_overflow 0
		.amdhsa_tg_split 0
		.amdhsa_exception_fp_ieee_invalid_op 0
		.amdhsa_exception_fp_denorm_src 0
		.amdhsa_exception_fp_ieee_div_zero 0
		.amdhsa_exception_fp_ieee_overflow 0
		.amdhsa_exception_fp_ieee_underflow 0
		.amdhsa_exception_fp_ieee_inexact 0
		.amdhsa_exception_int_div_zero 0
	.end_amdhsa_kernel
	.section	.text._Z6kernelI18scatter_to_blockedN15benchmark_utils11custom_typeIddEELj256ELj3ELj100EEvPKT0_PKjPS4_,"axG",@progbits,_Z6kernelI18scatter_to_blockedN15benchmark_utils11custom_typeIddEELj256ELj3ELj100EEvPKT0_PKjPS4_,comdat
.Lfunc_end146:
	.size	_Z6kernelI18scatter_to_blockedN15benchmark_utils11custom_typeIddEELj256ELj3ELj100EEvPKT0_PKjPS4_, .Lfunc_end146-_Z6kernelI18scatter_to_blockedN15benchmark_utils11custom_typeIddEELj256ELj3ELj100EEvPKT0_PKjPS4_
                                        ; -- End function
	.section	.AMDGPU.csdata,"",@progbits
; Kernel info:
; codeLenInByte = 288
; NumSgprs: 14
; NumVgprs: 19
; NumAgprs: 0
; TotalNumVgprs: 19
; ScratchSize: 0
; MemoryBound: 0
; FloatMode: 240
; IeeeMode: 1
; LDSByteSize: 12288 bytes/workgroup (compile time only)
; SGPRBlocks: 1
; VGPRBlocks: 2
; NumSGPRsForWavesPerEU: 14
; NumVGPRsForWavesPerEU: 19
; AccumOffset: 20
; Occupancy: 5
; WaveLimiterHint : 1
; COMPUTE_PGM_RSRC2:SCRATCH_EN: 0
; COMPUTE_PGM_RSRC2:USER_SGPR: 6
; COMPUTE_PGM_RSRC2:TRAP_HANDLER: 0
; COMPUTE_PGM_RSRC2:TGID_X_EN: 1
; COMPUTE_PGM_RSRC2:TGID_Y_EN: 0
; COMPUTE_PGM_RSRC2:TGID_Z_EN: 0
; COMPUTE_PGM_RSRC2:TIDIG_COMP_CNT: 0
; COMPUTE_PGM_RSRC3_GFX90A:ACCUM_OFFSET: 4
; COMPUTE_PGM_RSRC3_GFX90A:TG_SPLIT: 0
	.section	.text._Z6kernelI18scatter_to_blockedN15benchmark_utils11custom_typeIddEELj256ELj4ELj100EEvPKT0_PKjPS4_,"axG",@progbits,_Z6kernelI18scatter_to_blockedN15benchmark_utils11custom_typeIddEELj256ELj4ELj100EEvPKT0_PKjPS4_,comdat
	.protected	_Z6kernelI18scatter_to_blockedN15benchmark_utils11custom_typeIddEELj256ELj4ELj100EEvPKT0_PKjPS4_ ; -- Begin function _Z6kernelI18scatter_to_blockedN15benchmark_utils11custom_typeIddEELj256ELj4ELj100EEvPKT0_PKjPS4_
	.globl	_Z6kernelI18scatter_to_blockedN15benchmark_utils11custom_typeIddEELj256ELj4ELj100EEvPKT0_PKjPS4_
	.p2align	8
	.type	_Z6kernelI18scatter_to_blockedN15benchmark_utils11custom_typeIddEELj256ELj4ELj100EEvPKT0_PKjPS4_,@function
_Z6kernelI18scatter_to_blockedN15benchmark_utils11custom_typeIddEELj256ELj4ELj100EEvPKT0_PKjPS4_: ; @_Z6kernelI18scatter_to_blockedN15benchmark_utils11custom_typeIddEELj256ELj4ELj100EEvPKT0_PKjPS4_
; %bb.0:
	s_load_dwordx4 s[0:3], s[4:5], 0x0
	s_load_dwordx2 s[8:9], s[4:5], 0x10
	s_lshl_b32 s6, s6, 10
	s_mov_b32 s7, 0
	s_lshl_b64 s[4:5], s[6:7], 4
	s_waitcnt lgkmcnt(0)
	s_add_u32 s0, s0, s4
	s_addc_u32 s1, s1, s5
	v_lshlrev_b32_e32 v20, 4, v0
	s_lshl_b64 s[6:7], s[6:7], 2
	v_mov_b32_e32 v1, s1
	v_add_co_u32_e32 v4, vcc, s0, v20
	s_add_u32 s2, s2, s6
	v_addc_co_u32_e32 v5, vcc, 0, v1, vcc
	s_movk_i32 s10, 0x2000
	s_addc_u32 s3, s3, s7
	v_lshlrev_b32_e32 v1, 2, v0
	global_load_dword v21, v1, s[2:3]
	global_load_dword v22, v1, s[2:3] offset:1024
	global_load_dword v23, v1, s[2:3] offset:2048
	;; [unrolled: 1-line block ×3, first 2 shown]
	v_add_co_u32_e32 v2, vcc, s10, v4
	v_addc_co_u32_e32 v3, vcc, 0, v5, vcc
	s_movk_i32 s2, 0x3000
	v_add_co_u32_e32 v18, vcc, s2, v4
	global_load_dwordx4 v[10:13], v[2:3], off offset:-4096
	global_load_dwordx4 v[6:9], v[2:3], off
	v_addc_co_u32_e32 v19, vcc, 0, v5, vcc
	global_load_dwordx4 v[14:17], v20, s[0:1]
	global_load_dwordx4 v[2:5], v[18:19], off
	v_lshrrev_b32_e32 v0, 3, v0
	v_add_lshl_u32 v0, v0, v1, 4
	s_movk_i32 s0, 0x64
	s_waitcnt vmcnt(7)
	v_lshrrev_b32_e32 v18, 1, v21
	s_waitcnt vmcnt(6)
	v_lshrrev_b32_e32 v19, 1, v22
	;; [unrolled: 2-line block ×4, first 2 shown]
	v_and_b32_e32 v18, 0x7ffffff0, v18
	v_and_b32_e32 v19, 0x7ffffff0, v19
	;; [unrolled: 1-line block ×4, first 2 shown]
	v_lshl_add_u32 v18, v21, 4, v18
	v_lshl_add_u32 v19, v22, 4, v19
	;; [unrolled: 1-line block ×4, first 2 shown]
.LBB147_1:                              ; =>This Inner Loop Header: Depth=1
	s_waitcnt vmcnt(1)
	ds_write_b128 v18, v[14:17]
	ds_write_b128 v19, v[10:13]
	;; [unrolled: 1-line block ×3, first 2 shown]
	s_waitcnt vmcnt(0)
	ds_write_b128 v21, v[2:5]
	s_waitcnt lgkmcnt(0)
	s_barrier
	ds_read_b128 v[14:17], v0
	ds_read_b128 v[10:13], v0 offset:16
	ds_read_b128 v[6:9], v0 offset:32
	;; [unrolled: 1-line block ×3, first 2 shown]
	s_add_i32 s0, s0, -1
	s_cmp_lg_u32 s0, 0
	s_waitcnt lgkmcnt(0)
	s_barrier
	s_cbranch_scc1 .LBB147_1
; %bb.2:
	s_add_u32 s0, s8, s4
	s_addc_u32 s1, s9, s5
	v_lshlrev_b32_e32 v0, 4, v1
	global_store_dwordx4 v0, v[14:17], s[0:1]
	global_store_dwordx4 v0, v[10:13], s[0:1] offset:16
	global_store_dwordx4 v0, v[6:9], s[0:1] offset:32
	global_store_dwordx4 v0, v[2:5], s[0:1] offset:48
	s_endpgm
	.section	.rodata,"a",@progbits
	.p2align	6, 0x0
	.amdhsa_kernel _Z6kernelI18scatter_to_blockedN15benchmark_utils11custom_typeIddEELj256ELj4ELj100EEvPKT0_PKjPS4_
		.amdhsa_group_segment_fixed_size 16896
		.amdhsa_private_segment_fixed_size 0
		.amdhsa_kernarg_size 24
		.amdhsa_user_sgpr_count 6
		.amdhsa_user_sgpr_private_segment_buffer 1
		.amdhsa_user_sgpr_dispatch_ptr 0
		.amdhsa_user_sgpr_queue_ptr 0
		.amdhsa_user_sgpr_kernarg_segment_ptr 1
		.amdhsa_user_sgpr_dispatch_id 0
		.amdhsa_user_sgpr_flat_scratch_init 0
		.amdhsa_user_sgpr_kernarg_preload_length 0
		.amdhsa_user_sgpr_kernarg_preload_offset 0
		.amdhsa_user_sgpr_private_segment_size 0
		.amdhsa_uses_dynamic_stack 0
		.amdhsa_system_sgpr_private_segment_wavefront_offset 0
		.amdhsa_system_sgpr_workgroup_id_x 1
		.amdhsa_system_sgpr_workgroup_id_y 0
		.amdhsa_system_sgpr_workgroup_id_z 0
		.amdhsa_system_sgpr_workgroup_info 0
		.amdhsa_system_vgpr_workitem_id 0
		.amdhsa_next_free_vgpr 26
		.amdhsa_next_free_sgpr 11
		.amdhsa_accum_offset 28
		.amdhsa_reserve_vcc 1
		.amdhsa_reserve_flat_scratch 0
		.amdhsa_float_round_mode_32 0
		.amdhsa_float_round_mode_16_64 0
		.amdhsa_float_denorm_mode_32 3
		.amdhsa_float_denorm_mode_16_64 3
		.amdhsa_dx10_clamp 1
		.amdhsa_ieee_mode 1
		.amdhsa_fp16_overflow 0
		.amdhsa_tg_split 0
		.amdhsa_exception_fp_ieee_invalid_op 0
		.amdhsa_exception_fp_denorm_src 0
		.amdhsa_exception_fp_ieee_div_zero 0
		.amdhsa_exception_fp_ieee_overflow 0
		.amdhsa_exception_fp_ieee_underflow 0
		.amdhsa_exception_fp_ieee_inexact 0
		.amdhsa_exception_int_div_zero 0
	.end_amdhsa_kernel
	.section	.text._Z6kernelI18scatter_to_blockedN15benchmark_utils11custom_typeIddEELj256ELj4ELj100EEvPKT0_PKjPS4_,"axG",@progbits,_Z6kernelI18scatter_to_blockedN15benchmark_utils11custom_typeIddEELj256ELj4ELj100EEvPKT0_PKjPS4_,comdat
.Lfunc_end147:
	.size	_Z6kernelI18scatter_to_blockedN15benchmark_utils11custom_typeIddEELj256ELj4ELj100EEvPKT0_PKjPS4_, .Lfunc_end147-_Z6kernelI18scatter_to_blockedN15benchmark_utils11custom_typeIddEELj256ELj4ELj100EEvPKT0_PKjPS4_
                                        ; -- End function
	.section	.AMDGPU.csdata,"",@progbits
; Kernel info:
; codeLenInByte = 420
; NumSgprs: 15
; NumVgprs: 26
; NumAgprs: 0
; TotalNumVgprs: 26
; ScratchSize: 0
; MemoryBound: 0
; FloatMode: 240
; IeeeMode: 1
; LDSByteSize: 16896 bytes/workgroup (compile time only)
; SGPRBlocks: 1
; VGPRBlocks: 3
; NumSGPRsForWavesPerEU: 15
; NumVGPRsForWavesPerEU: 26
; AccumOffset: 28
; Occupancy: 3
; WaveLimiterHint : 1
; COMPUTE_PGM_RSRC2:SCRATCH_EN: 0
; COMPUTE_PGM_RSRC2:USER_SGPR: 6
; COMPUTE_PGM_RSRC2:TRAP_HANDLER: 0
; COMPUTE_PGM_RSRC2:TGID_X_EN: 1
; COMPUTE_PGM_RSRC2:TGID_Y_EN: 0
; COMPUTE_PGM_RSRC2:TGID_Z_EN: 0
; COMPUTE_PGM_RSRC2:TIDIG_COMP_CNT: 0
; COMPUTE_PGM_RSRC3_GFX90A:ACCUM_OFFSET: 6
; COMPUTE_PGM_RSRC3_GFX90A:TG_SPLIT: 0
	.section	.text._Z6kernelI18scatter_to_blockedN15benchmark_utils11custom_typeIddEELj256ELj7ELj100EEvPKT0_PKjPS4_,"axG",@progbits,_Z6kernelI18scatter_to_blockedN15benchmark_utils11custom_typeIddEELj256ELj7ELj100EEvPKT0_PKjPS4_,comdat
	.protected	_Z6kernelI18scatter_to_blockedN15benchmark_utils11custom_typeIddEELj256ELj7ELj100EEvPKT0_PKjPS4_ ; -- Begin function _Z6kernelI18scatter_to_blockedN15benchmark_utils11custom_typeIddEELj256ELj7ELj100EEvPKT0_PKjPS4_
	.globl	_Z6kernelI18scatter_to_blockedN15benchmark_utils11custom_typeIddEELj256ELj7ELj100EEvPKT0_PKjPS4_
	.p2align	8
	.type	_Z6kernelI18scatter_to_blockedN15benchmark_utils11custom_typeIddEELj256ELj7ELj100EEvPKT0_PKjPS4_,@function
_Z6kernelI18scatter_to_blockedN15benchmark_utils11custom_typeIddEELj256ELj7ELj100EEvPKT0_PKjPS4_: ; @_Z6kernelI18scatter_to_blockedN15benchmark_utils11custom_typeIddEELj256ELj7ELj100EEvPKT0_PKjPS4_
; %bb.0:
	s_load_dwordx4 s[0:3], s[4:5], 0x0
	s_load_dwordx2 s[8:9], s[4:5], 0x10
	s_mulk_i32 s6, 0x700
	s_mov_b32 s7, 0
	s_lshl_b64 s[4:5], s[6:7], 4
	s_waitcnt lgkmcnt(0)
	s_add_u32 s0, s0, s4
	s_addc_u32 s1, s1, s5
	v_lshlrev_b32_e32 v1, 4, v0
	v_mov_b32_e32 v2, s1
	v_add_co_u32_e32 v24, vcc, s0, v1
	v_addc_co_u32_e32 v25, vcc, 0, v2, vcc
	global_load_dwordx4 v[2:5], v1, s[0:1]
	s_movk_i32 s0, 0x2000
	v_add_co_u32_e32 v14, vcc, s0, v24
	v_addc_co_u32_e32 v15, vcc, 0, v25, vcc
	s_movk_i32 s0, 0x4000
	v_add_co_u32_e32 v22, vcc, s0, v24
	v_addc_co_u32_e32 v23, vcc, 0, v25, vcc
	s_movk_i32 s0, 0x6000
	v_add_co_u32_e32 v30, vcc, s0, v24
	s_lshl_b64 s[0:1], s[6:7], 2
	s_add_u32 s0, s2, s0
	v_addc_co_u32_e32 v31, vcc, 0, v25, vcc
	s_addc_u32 s1, s3, s1
	v_lshlrev_b32_e32 v1, 2, v0
	global_load_dwordx4 v[10:13], v[14:15], off offset:-4096
	global_load_dwordx4 v[6:9], v[14:15], off
	s_nop 0
	global_load_dwordx4 v[14:17], v[22:23], off offset:-4096
	global_load_dwordx4 v[18:21], v[22:23], off
	v_mov_b32_e32 v22, s1
	v_add_co_u32_e32 v23, vcc, s0, v1
	s_movk_i32 s10, 0x1000
	v_addc_co_u32_e32 v22, vcc, 0, v22, vcc
	v_add_co_u32_e32 v32, vcc, s10, v23
	v_addc_co_u32_e32 v33, vcc, 0, v22, vcc
	global_load_dword v34, v1, s[0:1]
	global_load_dword v35, v1, s[0:1] offset:1024
	global_load_dword v36, v1, s[0:1] offset:2048
	global_load_dword v37, v1, s[0:1] offset:3072
	global_load_dword v38, v[32:33], off
	global_load_dword v39, v[32:33], off offset:1024
	global_load_dword v40, v[32:33], off offset:2048
	global_load_dwordx4 v[26:29], v[30:31], off offset:-4096
	global_load_dwordx4 v[22:25], v[30:31], off
	v_mul_u32_u24_e32 v0, 7, v0
	v_lshlrev_b32_e32 v0, 4, v0
	s_movk_i32 s0, 0x64
	s_waitcnt vmcnt(8)
	v_lshlrev_b32_e32 v1, 4, v34
	s_waitcnt vmcnt(7)
	v_lshlrev_b32_e32 v30, 4, v35
	s_waitcnt vmcnt(6)
	v_lshlrev_b32_e32 v31, 4, v36
	s_waitcnt vmcnt(5)
	v_lshlrev_b32_e32 v32, 4, v37
	s_waitcnt vmcnt(4)
	v_lshlrev_b32_e32 v33, 4, v38
	s_waitcnt vmcnt(3)
	v_lshlrev_b32_e32 v34, 4, v39
	s_waitcnt vmcnt(2)
	v_lshlrev_b32_e32 v35, 4, v40
.LBB148_1:                              ; =>This Inner Loop Header: Depth=1
	ds_write_b128 v1, v[2:5]
	ds_write_b128 v30, v[10:13]
	;; [unrolled: 1-line block ×5, first 2 shown]
	s_waitcnt vmcnt(1)
	ds_write_b128 v34, v[26:29]
	s_waitcnt vmcnt(0)
	ds_write_b128 v35, v[22:25]
	s_waitcnt lgkmcnt(0)
	s_barrier
	ds_read_b128 v[2:5], v0
	ds_read_b128 v[10:13], v0 offset:16
	ds_read_b128 v[6:9], v0 offset:32
	;; [unrolled: 1-line block ×6, first 2 shown]
	s_add_i32 s0, s0, -1
	s_cmp_lg_u32 s0, 0
	s_waitcnt lgkmcnt(0)
	s_barrier
	s_cbranch_scc1 .LBB148_1
; %bb.2:
	s_add_u32 s0, s8, s4
	s_addc_u32 s1, s9, s5
	global_store_dwordx4 v0, v[2:5], s[0:1]
	global_store_dwordx4 v0, v[10:13], s[0:1] offset:16
	global_store_dwordx4 v0, v[6:9], s[0:1] offset:32
	;; [unrolled: 1-line block ×6, first 2 shown]
	s_endpgm
	.section	.rodata,"a",@progbits
	.p2align	6, 0x0
	.amdhsa_kernel _Z6kernelI18scatter_to_blockedN15benchmark_utils11custom_typeIddEELj256ELj7ELj100EEvPKT0_PKjPS4_
		.amdhsa_group_segment_fixed_size 28672
		.amdhsa_private_segment_fixed_size 0
		.amdhsa_kernarg_size 24
		.amdhsa_user_sgpr_count 6
		.amdhsa_user_sgpr_private_segment_buffer 1
		.amdhsa_user_sgpr_dispatch_ptr 0
		.amdhsa_user_sgpr_queue_ptr 0
		.amdhsa_user_sgpr_kernarg_segment_ptr 1
		.amdhsa_user_sgpr_dispatch_id 0
		.amdhsa_user_sgpr_flat_scratch_init 0
		.amdhsa_user_sgpr_kernarg_preload_length 0
		.amdhsa_user_sgpr_kernarg_preload_offset 0
		.amdhsa_user_sgpr_private_segment_size 0
		.amdhsa_uses_dynamic_stack 0
		.amdhsa_system_sgpr_private_segment_wavefront_offset 0
		.amdhsa_system_sgpr_workgroup_id_x 1
		.amdhsa_system_sgpr_workgroup_id_y 0
		.amdhsa_system_sgpr_workgroup_id_z 0
		.amdhsa_system_sgpr_workgroup_info 0
		.amdhsa_system_vgpr_workitem_id 0
		.amdhsa_next_free_vgpr 41
		.amdhsa_next_free_sgpr 11
		.amdhsa_accum_offset 44
		.amdhsa_reserve_vcc 1
		.amdhsa_reserve_flat_scratch 0
		.amdhsa_float_round_mode_32 0
		.amdhsa_float_round_mode_16_64 0
		.amdhsa_float_denorm_mode_32 3
		.amdhsa_float_denorm_mode_16_64 3
		.amdhsa_dx10_clamp 1
		.amdhsa_ieee_mode 1
		.amdhsa_fp16_overflow 0
		.amdhsa_tg_split 0
		.amdhsa_exception_fp_ieee_invalid_op 0
		.amdhsa_exception_fp_denorm_src 0
		.amdhsa_exception_fp_ieee_div_zero 0
		.amdhsa_exception_fp_ieee_overflow 0
		.amdhsa_exception_fp_ieee_underflow 0
		.amdhsa_exception_fp_ieee_inexact 0
		.amdhsa_exception_int_div_zero 0
	.end_amdhsa_kernel
	.section	.text._Z6kernelI18scatter_to_blockedN15benchmark_utils11custom_typeIddEELj256ELj7ELj100EEvPKT0_PKjPS4_,"axG",@progbits,_Z6kernelI18scatter_to_blockedN15benchmark_utils11custom_typeIddEELj256ELj7ELj100EEvPKT0_PKjPS4_,comdat
.Lfunc_end148:
	.size	_Z6kernelI18scatter_to_blockedN15benchmark_utils11custom_typeIddEELj256ELj7ELj100EEvPKT0_PKjPS4_, .Lfunc_end148-_Z6kernelI18scatter_to_blockedN15benchmark_utils11custom_typeIddEELj256ELj7ELj100EEvPKT0_PKjPS4_
                                        ; -- End function
	.section	.AMDGPU.csdata,"",@progbits
; Kernel info:
; codeLenInByte = 532
; NumSgprs: 15
; NumVgprs: 41
; NumAgprs: 0
; TotalNumVgprs: 41
; ScratchSize: 0
; MemoryBound: 1
; FloatMode: 240
; IeeeMode: 1
; LDSByteSize: 28672 bytes/workgroup (compile time only)
; SGPRBlocks: 1
; VGPRBlocks: 5
; NumSGPRsForWavesPerEU: 15
; NumVGPRsForWavesPerEU: 41
; AccumOffset: 44
; Occupancy: 2
; WaveLimiterHint : 1
; COMPUTE_PGM_RSRC2:SCRATCH_EN: 0
; COMPUTE_PGM_RSRC2:USER_SGPR: 6
; COMPUTE_PGM_RSRC2:TRAP_HANDLER: 0
; COMPUTE_PGM_RSRC2:TGID_X_EN: 1
; COMPUTE_PGM_RSRC2:TGID_Y_EN: 0
; COMPUTE_PGM_RSRC2:TGID_Z_EN: 0
; COMPUTE_PGM_RSRC2:TIDIG_COMP_CNT: 0
; COMPUTE_PGM_RSRC3_GFX90A:ACCUM_OFFSET: 10
; COMPUTE_PGM_RSRC3_GFX90A:TG_SPLIT: 0
	.section	.text._Z6kernelI18scatter_to_blockedN15benchmark_utils11custom_typeIddEELj256ELj8ELj100EEvPKT0_PKjPS4_,"axG",@progbits,_Z6kernelI18scatter_to_blockedN15benchmark_utils11custom_typeIddEELj256ELj8ELj100EEvPKT0_PKjPS4_,comdat
	.protected	_Z6kernelI18scatter_to_blockedN15benchmark_utils11custom_typeIddEELj256ELj8ELj100EEvPKT0_PKjPS4_ ; -- Begin function _Z6kernelI18scatter_to_blockedN15benchmark_utils11custom_typeIddEELj256ELj8ELj100EEvPKT0_PKjPS4_
	.globl	_Z6kernelI18scatter_to_blockedN15benchmark_utils11custom_typeIddEELj256ELj8ELj100EEvPKT0_PKjPS4_
	.p2align	8
	.type	_Z6kernelI18scatter_to_blockedN15benchmark_utils11custom_typeIddEELj256ELj8ELj100EEvPKT0_PKjPS4_,@function
_Z6kernelI18scatter_to_blockedN15benchmark_utils11custom_typeIddEELj256ELj8ELj100EEvPKT0_PKjPS4_: ; @_Z6kernelI18scatter_to_blockedN15benchmark_utils11custom_typeIddEELj256ELj8ELj100EEvPKT0_PKjPS4_
; %bb.0:
	s_load_dwordx4 s[0:3], s[4:5], 0x0
	s_load_dwordx2 s[8:9], s[4:5], 0x10
	s_lshl_b32 s6, s6, 11
	s_mov_b32 s7, 0
	s_lshl_b64 s[4:5], s[6:7], 4
	s_waitcnt lgkmcnt(0)
	s_add_u32 s0, s0, s4
	s_addc_u32 s1, s1, s5
	v_lshlrev_b32_e32 v1, 4, v0
	v_mov_b32_e32 v2, s1
	v_add_co_u32_e32 v28, vcc, s0, v1
	v_addc_co_u32_e32 v29, vcc, 0, v2, vcc
	s_movk_i32 s11, 0x2000
	v_add_co_u32_e32 v10, vcc, s11, v28
	v_addc_co_u32_e32 v11, vcc, 0, v29, vcc
	s_movk_i32 s11, 0x4000
	v_add_co_u32_e32 v18, vcc, s11, v28
	s_lshl_b64 s[6:7], s[6:7], 2
	v_addc_co_u32_e32 v19, vcc, 0, v29, vcc
	s_add_u32 s2, s2, s6
	global_load_dwordx4 v[6:9], v[10:11], off offset:-4096
	global_load_dwordx4 v[2:5], v[10:11], off
	s_nop 0
	global_load_dwordx4 v[10:13], v[18:19], off offset:-4096
	global_load_dwordx4 v[14:17], v[18:19], off
	s_addc_u32 s3, s3, s7
	v_lshlrev_b32_e32 v18, 2, v0
	v_mov_b32_e32 v19, s3
	global_load_dword v36, v18, s[2:3]
	global_load_dword v37, v18, s[2:3] offset:1024
	global_load_dword v38, v18, s[2:3] offset:2048
	;; [unrolled: 1-line block ×3, first 2 shown]
	v_add_co_u32_e32 v18, vcc, s2, v18
	s_movk_i32 s10, 0x1000
	v_addc_co_u32_e32 v19, vcc, 0, v19, vcc
	v_add_co_u32_e32 v18, vcc, s10, v18
	s_movk_i32 s11, 0x6000
	v_addc_co_u32_e32 v19, vcc, 0, v19, vcc
	global_load_dword v40, v[18:19], off
	global_load_dword v41, v[18:19], off offset:1024
	global_load_dword v42, v[18:19], off offset:2048
	;; [unrolled: 1-line block ×3, first 2 shown]
	v_add_co_u32_e32 v26, vcc, s11, v28
	v_addc_co_u32_e32 v27, vcc, 0, v29, vcc
	s_movk_i32 s2, 0x7000
	v_add_co_u32_e32 v34, vcc, s2, v28
	global_load_dwordx4 v[22:25], v[26:27], off offset:-4096
	global_load_dwordx4 v[18:21], v[26:27], off
	v_addc_co_u32_e32 v35, vcc, 0, v29, vcc
	global_load_dwordx4 v[30:33], v1, s[0:1]
	global_load_dwordx4 v[26:29], v[34:35], off
	v_lshlrev_b32_e32 v1, 3, v0
	v_lshrrev_b32_e32 v0, 2, v0
	v_add_lshl_u32 v0, v0, v1, 4
	s_movk_i32 s0, 0x64
	s_waitcnt vmcnt(11)
	v_lshrrev_b32_e32 v34, 1, v36
	s_waitcnt vmcnt(10)
	v_lshrrev_b32_e32 v35, 1, v37
	;; [unrolled: 2-line block ×4, first 2 shown]
	v_and_b32_e32 v34, 0x7ffffff0, v34
	v_and_b32_e32 v35, 0x7ffffff0, v35
	v_and_b32_e32 v44, 0x7ffffff0, v44
	v_and_b32_e32 v45, 0x7ffffff0, v45
	v_lshl_add_u32 v34, v36, 4, v34
	v_lshl_add_u32 v35, v37, 4, v35
	;; [unrolled: 1-line block ×4, first 2 shown]
	s_waitcnt vmcnt(7)
	v_lshrrev_b32_e32 v38, 1, v40
	s_waitcnt vmcnt(6)
	v_lshrrev_b32_e32 v39, 1, v41
	;; [unrolled: 2-line block ×4, first 2 shown]
	v_and_b32_e32 v38, 0x7ffffff0, v38
	v_and_b32_e32 v39, 0x7ffffff0, v39
	;; [unrolled: 1-line block ×4, first 2 shown]
	v_lshl_add_u32 v38, v40, 4, v38
	v_lshl_add_u32 v39, v41, 4, v39
	;; [unrolled: 1-line block ×4, first 2 shown]
.LBB149_1:                              ; =>This Inner Loop Header: Depth=1
	s_waitcnt vmcnt(1)
	ds_write_b128 v34, v[30:33]
	ds_write_b128 v35, v[6:9]
	ds_write_b128 v36, v[2:5]
	ds_write_b128 v37, v[10:13]
	ds_write_b128 v38, v[14:17]
	ds_write_b128 v39, v[22:25]
	ds_write_b128 v40, v[18:21]
	s_waitcnt vmcnt(0)
	ds_write_b128 v41, v[26:29]
	s_waitcnt lgkmcnt(0)
	s_barrier
	ds_read_b128 v[30:33], v0
	ds_read_b128 v[6:9], v0 offset:16
	ds_read_b128 v[2:5], v0 offset:32
	;; [unrolled: 1-line block ×7, first 2 shown]
	s_add_i32 s0, s0, -1
	s_cmp_lg_u32 s0, 0
	s_waitcnt lgkmcnt(0)
	s_barrier
	s_cbranch_scc1 .LBB149_1
; %bb.2:
	s_add_u32 s0, s8, s4
	s_addc_u32 s1, s9, s5
	v_lshlrev_b32_e32 v0, 4, v1
	global_store_dwordx4 v0, v[30:33], s[0:1]
	global_store_dwordx4 v0, v[6:9], s[0:1] offset:16
	global_store_dwordx4 v0, v[2:5], s[0:1] offset:32
	;; [unrolled: 1-line block ×7, first 2 shown]
	s_endpgm
	.section	.rodata,"a",@progbits
	.p2align	6, 0x0
	.amdhsa_kernel _Z6kernelI18scatter_to_blockedN15benchmark_utils11custom_typeIddEELj256ELj8ELj100EEvPKT0_PKjPS4_
		.amdhsa_group_segment_fixed_size 33792
		.amdhsa_private_segment_fixed_size 0
		.amdhsa_kernarg_size 24
		.amdhsa_user_sgpr_count 6
		.amdhsa_user_sgpr_private_segment_buffer 1
		.amdhsa_user_sgpr_dispatch_ptr 0
		.amdhsa_user_sgpr_queue_ptr 0
		.amdhsa_user_sgpr_kernarg_segment_ptr 1
		.amdhsa_user_sgpr_dispatch_id 0
		.amdhsa_user_sgpr_flat_scratch_init 0
		.amdhsa_user_sgpr_kernarg_preload_length 0
		.amdhsa_user_sgpr_kernarg_preload_offset 0
		.amdhsa_user_sgpr_private_segment_size 0
		.amdhsa_uses_dynamic_stack 0
		.amdhsa_system_sgpr_private_segment_wavefront_offset 0
		.amdhsa_system_sgpr_workgroup_id_x 1
		.amdhsa_system_sgpr_workgroup_id_y 0
		.amdhsa_system_sgpr_workgroup_id_z 0
		.amdhsa_system_sgpr_workgroup_info 0
		.amdhsa_system_vgpr_workitem_id 0
		.amdhsa_next_free_vgpr 46
		.amdhsa_next_free_sgpr 12
		.amdhsa_accum_offset 48
		.amdhsa_reserve_vcc 1
		.amdhsa_reserve_flat_scratch 0
		.amdhsa_float_round_mode_32 0
		.amdhsa_float_round_mode_16_64 0
		.amdhsa_float_denorm_mode_32 3
		.amdhsa_float_denorm_mode_16_64 3
		.amdhsa_dx10_clamp 1
		.amdhsa_ieee_mode 1
		.amdhsa_fp16_overflow 0
		.amdhsa_tg_split 0
		.amdhsa_exception_fp_ieee_invalid_op 0
		.amdhsa_exception_fp_denorm_src 0
		.amdhsa_exception_fp_ieee_div_zero 0
		.amdhsa_exception_fp_ieee_overflow 0
		.amdhsa_exception_fp_ieee_underflow 0
		.amdhsa_exception_fp_ieee_inexact 0
		.amdhsa_exception_int_div_zero 0
	.end_amdhsa_kernel
	.section	.text._Z6kernelI18scatter_to_blockedN15benchmark_utils11custom_typeIddEELj256ELj8ELj100EEvPKT0_PKjPS4_,"axG",@progbits,_Z6kernelI18scatter_to_blockedN15benchmark_utils11custom_typeIddEELj256ELj8ELj100EEvPKT0_PKjPS4_,comdat
.Lfunc_end149:
	.size	_Z6kernelI18scatter_to_blockedN15benchmark_utils11custom_typeIddEELj256ELj8ELj100EEvPKT0_PKjPS4_, .Lfunc_end149-_Z6kernelI18scatter_to_blockedN15benchmark_utils11custom_typeIddEELj256ELj8ELj100EEvPKT0_PKjPS4_
                                        ; -- End function
	.section	.AMDGPU.csdata,"",@progbits
; Kernel info:
; codeLenInByte = 732
; NumSgprs: 16
; NumVgprs: 46
; NumAgprs: 0
; TotalNumVgprs: 46
; ScratchSize: 0
; MemoryBound: 0
; FloatMode: 240
; IeeeMode: 1
; LDSByteSize: 33792 bytes/workgroup (compile time only)
; SGPRBlocks: 1
; VGPRBlocks: 5
; NumSGPRsForWavesPerEU: 16
; NumVGPRsForWavesPerEU: 46
; AccumOffset: 48
; Occupancy: 1
; WaveLimiterHint : 1
; COMPUTE_PGM_RSRC2:SCRATCH_EN: 0
; COMPUTE_PGM_RSRC2:USER_SGPR: 6
; COMPUTE_PGM_RSRC2:TRAP_HANDLER: 0
; COMPUTE_PGM_RSRC2:TGID_X_EN: 1
; COMPUTE_PGM_RSRC2:TGID_Y_EN: 0
; COMPUTE_PGM_RSRC2:TGID_Z_EN: 0
; COMPUTE_PGM_RSRC2:TIDIG_COMP_CNT: 0
; COMPUTE_PGM_RSRC3_GFX90A:ACCUM_OFFSET: 11
; COMPUTE_PGM_RSRC3_GFX90A:TG_SPLIT: 0
	.section	.text._Z6kernelI18scatter_to_stripediLj256ELj1ELj100EEvPKT0_PKjPS1_,"axG",@progbits,_Z6kernelI18scatter_to_stripediLj256ELj1ELj100EEvPKT0_PKjPS1_,comdat
	.protected	_Z6kernelI18scatter_to_stripediLj256ELj1ELj100EEvPKT0_PKjPS1_ ; -- Begin function _Z6kernelI18scatter_to_stripediLj256ELj1ELj100EEvPKT0_PKjPS1_
	.globl	_Z6kernelI18scatter_to_stripediLj256ELj1ELj100EEvPKT0_PKjPS1_
	.p2align	8
	.type	_Z6kernelI18scatter_to_stripediLj256ELj1ELj100EEvPKT0_PKjPS1_,@function
_Z6kernelI18scatter_to_stripediLj256ELj1ELj100EEvPKT0_PKjPS1_: ; @_Z6kernelI18scatter_to_stripediLj256ELj1ELj100EEvPKT0_PKjPS1_
; %bb.0:
	s_load_dwordx4 s[8:11], s[4:5], 0x0
	s_load_dwordx2 s[0:1], s[4:5], 0x10
	s_lshl_b32 s2, s6, 8
	s_mov_b32 s3, 0
	s_lshl_b64 s[2:3], s[2:3], 2
	s_waitcnt lgkmcnt(0)
	s_add_u32 s4, s8, s2
	s_addc_u32 s5, s9, s3
	s_add_u32 s6, s10, s2
	v_lshlrev_b32_e32 v1, 2, v0
	s_addc_u32 s7, s11, s3
	global_load_dword v3, v1, s[6:7]
	global_load_dword v2, v1, s[4:5]
	s_movk_i32 s4, 0x64
	s_waitcnt vmcnt(1)
	v_lshlrev_b32_e32 v3, 2, v3
.LBB150_1:                              ; =>This Inner Loop Header: Depth=1
	s_waitcnt vmcnt(0)
	ds_write_b32 v3, v2
	s_waitcnt lgkmcnt(0)
	s_barrier
	ds_read_b32 v2, v1
	s_add_i32 s4, s4, -1
	s_cmp_lg_u32 s4, 0
	s_waitcnt lgkmcnt(0)
	s_barrier
	s_cbranch_scc1 .LBB150_1
; %bb.2:
	s_add_u32 s0, s0, s2
	s_addc_u32 s1, s1, s3
	v_lshlrev_b32_e32 v0, 2, v0
	global_store_dword v0, v2, s[0:1]
	s_endpgm
	.section	.rodata,"a",@progbits
	.p2align	6, 0x0
	.amdhsa_kernel _Z6kernelI18scatter_to_stripediLj256ELj1ELj100EEvPKT0_PKjPS1_
		.amdhsa_group_segment_fixed_size 1024
		.amdhsa_private_segment_fixed_size 0
		.amdhsa_kernarg_size 24
		.amdhsa_user_sgpr_count 6
		.amdhsa_user_sgpr_private_segment_buffer 1
		.amdhsa_user_sgpr_dispatch_ptr 0
		.amdhsa_user_sgpr_queue_ptr 0
		.amdhsa_user_sgpr_kernarg_segment_ptr 1
		.amdhsa_user_sgpr_dispatch_id 0
		.amdhsa_user_sgpr_flat_scratch_init 0
		.amdhsa_user_sgpr_kernarg_preload_length 0
		.amdhsa_user_sgpr_kernarg_preload_offset 0
		.amdhsa_user_sgpr_private_segment_size 0
		.amdhsa_uses_dynamic_stack 0
		.amdhsa_system_sgpr_private_segment_wavefront_offset 0
		.amdhsa_system_sgpr_workgroup_id_x 1
		.amdhsa_system_sgpr_workgroup_id_y 0
		.amdhsa_system_sgpr_workgroup_id_z 0
		.amdhsa_system_sgpr_workgroup_info 0
		.amdhsa_system_vgpr_workitem_id 0
		.amdhsa_next_free_vgpr 4
		.amdhsa_next_free_sgpr 12
		.amdhsa_accum_offset 4
		.amdhsa_reserve_vcc 0
		.amdhsa_reserve_flat_scratch 0
		.amdhsa_float_round_mode_32 0
		.amdhsa_float_round_mode_16_64 0
		.amdhsa_float_denorm_mode_32 3
		.amdhsa_float_denorm_mode_16_64 3
		.amdhsa_dx10_clamp 1
		.amdhsa_ieee_mode 1
		.amdhsa_fp16_overflow 0
		.amdhsa_tg_split 0
		.amdhsa_exception_fp_ieee_invalid_op 0
		.amdhsa_exception_fp_denorm_src 0
		.amdhsa_exception_fp_ieee_div_zero 0
		.amdhsa_exception_fp_ieee_overflow 0
		.amdhsa_exception_fp_ieee_underflow 0
		.amdhsa_exception_fp_ieee_inexact 0
		.amdhsa_exception_int_div_zero 0
	.end_amdhsa_kernel
	.section	.text._Z6kernelI18scatter_to_stripediLj256ELj1ELj100EEvPKT0_PKjPS1_,"axG",@progbits,_Z6kernelI18scatter_to_stripediLj256ELj1ELj100EEvPKT0_PKjPS1_,comdat
.Lfunc_end150:
	.size	_Z6kernelI18scatter_to_stripediLj256ELj1ELj100EEvPKT0_PKjPS1_, .Lfunc_end150-_Z6kernelI18scatter_to_stripediLj256ELj1ELj100EEvPKT0_PKjPS1_
                                        ; -- End function
	.section	.AMDGPU.csdata,"",@progbits
; Kernel info:
; codeLenInByte = 152
; NumSgprs: 16
; NumVgprs: 4
; NumAgprs: 0
; TotalNumVgprs: 4
; ScratchSize: 0
; MemoryBound: 0
; FloatMode: 240
; IeeeMode: 1
; LDSByteSize: 1024 bytes/workgroup (compile time only)
; SGPRBlocks: 1
; VGPRBlocks: 0
; NumSGPRsForWavesPerEU: 16
; NumVGPRsForWavesPerEU: 4
; AccumOffset: 4
; Occupancy: 8
; WaveLimiterHint : 0
; COMPUTE_PGM_RSRC2:SCRATCH_EN: 0
; COMPUTE_PGM_RSRC2:USER_SGPR: 6
; COMPUTE_PGM_RSRC2:TRAP_HANDLER: 0
; COMPUTE_PGM_RSRC2:TGID_X_EN: 1
; COMPUTE_PGM_RSRC2:TGID_Y_EN: 0
; COMPUTE_PGM_RSRC2:TGID_Z_EN: 0
; COMPUTE_PGM_RSRC2:TIDIG_COMP_CNT: 0
; COMPUTE_PGM_RSRC3_GFX90A:ACCUM_OFFSET: 0
; COMPUTE_PGM_RSRC3_GFX90A:TG_SPLIT: 0
	.section	.text._Z6kernelI18scatter_to_stripediLj256ELj2ELj100EEvPKT0_PKjPS1_,"axG",@progbits,_Z6kernelI18scatter_to_stripediLj256ELj2ELj100EEvPKT0_PKjPS1_,comdat
	.protected	_Z6kernelI18scatter_to_stripediLj256ELj2ELj100EEvPKT0_PKjPS1_ ; -- Begin function _Z6kernelI18scatter_to_stripediLj256ELj2ELj100EEvPKT0_PKjPS1_
	.globl	_Z6kernelI18scatter_to_stripediLj256ELj2ELj100EEvPKT0_PKjPS1_
	.p2align	8
	.type	_Z6kernelI18scatter_to_stripediLj256ELj2ELj100EEvPKT0_PKjPS1_,@function
_Z6kernelI18scatter_to_stripediLj256ELj2ELj100EEvPKT0_PKjPS1_: ; @_Z6kernelI18scatter_to_stripediLj256ELj2ELj100EEvPKT0_PKjPS1_
; %bb.0:
	s_load_dwordx4 s[8:11], s[4:5], 0x0
	s_load_dwordx2 s[0:1], s[4:5], 0x10
	s_lshl_b32 s2, s6, 9
	s_mov_b32 s3, 0
	s_lshl_b64 s[2:3], s[2:3], 2
	s_waitcnt lgkmcnt(0)
	s_add_u32 s4, s8, s2
	s_addc_u32 s5, s9, s3
	s_add_u32 s6, s10, s2
	v_lshlrev_b32_e32 v1, 2, v0
	s_addc_u32 s7, s11, s3
	global_load_dword v4, v1, s[6:7]
	global_load_dword v5, v1, s[6:7] offset:1024
	global_load_dword v2, v1, s[4:5]
	global_load_dword v3, v1, s[4:5] offset:1024
	s_movk_i32 s4, 0x64
	s_waitcnt vmcnt(3)
	v_lshlrev_b32_e32 v4, 2, v4
	s_waitcnt vmcnt(2)
	v_lshlrev_b32_e32 v5, 2, v5
.LBB151_1:                              ; =>This Inner Loop Header: Depth=1
	s_waitcnt vmcnt(1)
	ds_write_b32 v4, v2
	s_waitcnt vmcnt(0)
	ds_write_b32 v5, v3
	s_waitcnt lgkmcnt(0)
	s_barrier
	ds_read2st64_b32 v[2:3], v1 offset1:4
	s_add_i32 s4, s4, -1
	s_cmp_lg_u32 s4, 0
	s_waitcnt lgkmcnt(0)
	s_barrier
	s_cbranch_scc1 .LBB151_1
; %bb.2:
	s_add_u32 s0, s0, s2
	s_addc_u32 s1, s1, s3
	v_lshlrev_b32_e32 v0, 2, v0
	global_store_dword v0, v2, s[0:1]
	global_store_dword v0, v3, s[0:1] offset:1024
	s_endpgm
	.section	.rodata,"a",@progbits
	.p2align	6, 0x0
	.amdhsa_kernel _Z6kernelI18scatter_to_stripediLj256ELj2ELj100EEvPKT0_PKjPS1_
		.amdhsa_group_segment_fixed_size 2112
		.amdhsa_private_segment_fixed_size 0
		.amdhsa_kernarg_size 24
		.amdhsa_user_sgpr_count 6
		.amdhsa_user_sgpr_private_segment_buffer 1
		.amdhsa_user_sgpr_dispatch_ptr 0
		.amdhsa_user_sgpr_queue_ptr 0
		.amdhsa_user_sgpr_kernarg_segment_ptr 1
		.amdhsa_user_sgpr_dispatch_id 0
		.amdhsa_user_sgpr_flat_scratch_init 0
		.amdhsa_user_sgpr_kernarg_preload_length 0
		.amdhsa_user_sgpr_kernarg_preload_offset 0
		.amdhsa_user_sgpr_private_segment_size 0
		.amdhsa_uses_dynamic_stack 0
		.amdhsa_system_sgpr_private_segment_wavefront_offset 0
		.amdhsa_system_sgpr_workgroup_id_x 1
		.amdhsa_system_sgpr_workgroup_id_y 0
		.amdhsa_system_sgpr_workgroup_id_z 0
		.amdhsa_system_sgpr_workgroup_info 0
		.amdhsa_system_vgpr_workitem_id 0
		.amdhsa_next_free_vgpr 6
		.amdhsa_next_free_sgpr 12
		.amdhsa_accum_offset 8
		.amdhsa_reserve_vcc 0
		.amdhsa_reserve_flat_scratch 0
		.amdhsa_float_round_mode_32 0
		.amdhsa_float_round_mode_16_64 0
		.amdhsa_float_denorm_mode_32 3
		.amdhsa_float_denorm_mode_16_64 3
		.amdhsa_dx10_clamp 1
		.amdhsa_ieee_mode 1
		.amdhsa_fp16_overflow 0
		.amdhsa_tg_split 0
		.amdhsa_exception_fp_ieee_invalid_op 0
		.amdhsa_exception_fp_denorm_src 0
		.amdhsa_exception_fp_ieee_div_zero 0
		.amdhsa_exception_fp_ieee_overflow 0
		.amdhsa_exception_fp_ieee_underflow 0
		.amdhsa_exception_fp_ieee_inexact 0
		.amdhsa_exception_int_div_zero 0
	.end_amdhsa_kernel
	.section	.text._Z6kernelI18scatter_to_stripediLj256ELj2ELj100EEvPKT0_PKjPS1_,"axG",@progbits,_Z6kernelI18scatter_to_stripediLj256ELj2ELj100EEvPKT0_PKjPS1_,comdat
.Lfunc_end151:
	.size	_Z6kernelI18scatter_to_stripediLj256ELj2ELj100EEvPKT0_PKjPS1_, .Lfunc_end151-_Z6kernelI18scatter_to_stripediLj256ELj2ELj100EEvPKT0_PKjPS1_
                                        ; -- End function
	.section	.AMDGPU.csdata,"",@progbits
; Kernel info:
; codeLenInByte = 196
; NumSgprs: 16
; NumVgprs: 6
; NumAgprs: 0
; TotalNumVgprs: 6
; ScratchSize: 0
; MemoryBound: 0
; FloatMode: 240
; IeeeMode: 1
; LDSByteSize: 2112 bytes/workgroup (compile time only)
; SGPRBlocks: 1
; VGPRBlocks: 0
; NumSGPRsForWavesPerEU: 16
; NumVGPRsForWavesPerEU: 6
; AccumOffset: 8
; Occupancy: 8
; WaveLimiterHint : 1
; COMPUTE_PGM_RSRC2:SCRATCH_EN: 0
; COMPUTE_PGM_RSRC2:USER_SGPR: 6
; COMPUTE_PGM_RSRC2:TRAP_HANDLER: 0
; COMPUTE_PGM_RSRC2:TGID_X_EN: 1
; COMPUTE_PGM_RSRC2:TGID_Y_EN: 0
; COMPUTE_PGM_RSRC2:TGID_Z_EN: 0
; COMPUTE_PGM_RSRC2:TIDIG_COMP_CNT: 0
; COMPUTE_PGM_RSRC3_GFX90A:ACCUM_OFFSET: 1
; COMPUTE_PGM_RSRC3_GFX90A:TG_SPLIT: 0
	.section	.text._Z6kernelI18scatter_to_stripediLj256ELj3ELj100EEvPKT0_PKjPS1_,"axG",@progbits,_Z6kernelI18scatter_to_stripediLj256ELj3ELj100EEvPKT0_PKjPS1_,comdat
	.protected	_Z6kernelI18scatter_to_stripediLj256ELj3ELj100EEvPKT0_PKjPS1_ ; -- Begin function _Z6kernelI18scatter_to_stripediLj256ELj3ELj100EEvPKT0_PKjPS1_
	.globl	_Z6kernelI18scatter_to_stripediLj256ELj3ELj100EEvPKT0_PKjPS1_
	.p2align	8
	.type	_Z6kernelI18scatter_to_stripediLj256ELj3ELj100EEvPKT0_PKjPS1_,@function
_Z6kernelI18scatter_to_stripediLj256ELj3ELj100EEvPKT0_PKjPS1_: ; @_Z6kernelI18scatter_to_stripediLj256ELj3ELj100EEvPKT0_PKjPS1_
; %bb.0:
	s_load_dwordx4 s[8:11], s[4:5], 0x0
	s_load_dwordx2 s[0:1], s[4:5], 0x10
	s_mul_i32 s2, s6, 0x300
	s_mov_b32 s3, 0
	s_lshl_b64 s[2:3], s[2:3], 2
	s_waitcnt lgkmcnt(0)
	s_add_u32 s4, s8, s2
	s_addc_u32 s5, s9, s3
	s_add_u32 s6, s10, s2
	v_lshlrev_b32_e32 v1, 2, v0
	s_addc_u32 s7, s11, s3
	global_load_dword v5, v1, s[6:7]
	global_load_dword v6, v1, s[6:7] offset:1024
	global_load_dword v7, v1, s[6:7] offset:2048
	global_load_dword v2, v1, s[4:5]
	global_load_dword v3, v1, s[4:5] offset:1024
	global_load_dword v4, v1, s[4:5] offset:2048
	s_movk_i32 s4, 0x64
	s_waitcnt vmcnt(5)
	v_lshlrev_b32_e32 v5, 2, v5
	s_waitcnt vmcnt(4)
	v_lshlrev_b32_e32 v6, 2, v6
	;; [unrolled: 2-line block ×3, first 2 shown]
.LBB152_1:                              ; =>This Inner Loop Header: Depth=1
	s_waitcnt vmcnt(2)
	ds_write_b32 v5, v2
	s_waitcnt vmcnt(1)
	ds_write_b32 v6, v3
	;; [unrolled: 2-line block ×3, first 2 shown]
	s_waitcnt lgkmcnt(0)
	s_barrier
	ds_read2st64_b32 v[2:3], v1 offset1:4
	ds_read_b32 v4, v1 offset:2048
	s_add_i32 s4, s4, -1
	s_cmp_lg_u32 s4, 0
	s_waitcnt lgkmcnt(0)
	s_barrier
	s_cbranch_scc1 .LBB152_1
; %bb.2:
	s_add_u32 s0, s0, s2
	s_addc_u32 s1, s1, s3
	v_lshlrev_b32_e32 v0, 2, v0
	global_store_dword v0, v2, s[0:1]
	global_store_dword v0, v3, s[0:1] offset:1024
	global_store_dword v0, v4, s[0:1] offset:2048
	s_endpgm
	.section	.rodata,"a",@progbits
	.p2align	6, 0x0
	.amdhsa_kernel _Z6kernelI18scatter_to_stripediLj256ELj3ELj100EEvPKT0_PKjPS1_
		.amdhsa_group_segment_fixed_size 3072
		.amdhsa_private_segment_fixed_size 0
		.amdhsa_kernarg_size 24
		.amdhsa_user_sgpr_count 6
		.amdhsa_user_sgpr_private_segment_buffer 1
		.amdhsa_user_sgpr_dispatch_ptr 0
		.amdhsa_user_sgpr_queue_ptr 0
		.amdhsa_user_sgpr_kernarg_segment_ptr 1
		.amdhsa_user_sgpr_dispatch_id 0
		.amdhsa_user_sgpr_flat_scratch_init 0
		.amdhsa_user_sgpr_kernarg_preload_length 0
		.amdhsa_user_sgpr_kernarg_preload_offset 0
		.amdhsa_user_sgpr_private_segment_size 0
		.amdhsa_uses_dynamic_stack 0
		.amdhsa_system_sgpr_private_segment_wavefront_offset 0
		.amdhsa_system_sgpr_workgroup_id_x 1
		.amdhsa_system_sgpr_workgroup_id_y 0
		.amdhsa_system_sgpr_workgroup_id_z 0
		.amdhsa_system_sgpr_workgroup_info 0
		.amdhsa_system_vgpr_workitem_id 0
		.amdhsa_next_free_vgpr 8
		.amdhsa_next_free_sgpr 12
		.amdhsa_accum_offset 8
		.amdhsa_reserve_vcc 0
		.amdhsa_reserve_flat_scratch 0
		.amdhsa_float_round_mode_32 0
		.amdhsa_float_round_mode_16_64 0
		.amdhsa_float_denorm_mode_32 3
		.amdhsa_float_denorm_mode_16_64 3
		.amdhsa_dx10_clamp 1
		.amdhsa_ieee_mode 1
		.amdhsa_fp16_overflow 0
		.amdhsa_tg_split 0
		.amdhsa_exception_fp_ieee_invalid_op 0
		.amdhsa_exception_fp_denorm_src 0
		.amdhsa_exception_fp_ieee_div_zero 0
		.amdhsa_exception_fp_ieee_overflow 0
		.amdhsa_exception_fp_ieee_underflow 0
		.amdhsa_exception_fp_ieee_inexact 0
		.amdhsa_exception_int_div_zero 0
	.end_amdhsa_kernel
	.section	.text._Z6kernelI18scatter_to_stripediLj256ELj3ELj100EEvPKT0_PKjPS1_,"axG",@progbits,_Z6kernelI18scatter_to_stripediLj256ELj3ELj100EEvPKT0_PKjPS1_,comdat
.Lfunc_end152:
	.size	_Z6kernelI18scatter_to_stripediLj256ELj3ELj100EEvPKT0_PKjPS1_, .Lfunc_end152-_Z6kernelI18scatter_to_stripediLj256ELj3ELj100EEvPKT0_PKjPS1_
                                        ; -- End function
	.section	.AMDGPU.csdata,"",@progbits
; Kernel info:
; codeLenInByte = 252
; NumSgprs: 16
; NumVgprs: 8
; NumAgprs: 0
; TotalNumVgprs: 8
; ScratchSize: 0
; MemoryBound: 0
; FloatMode: 240
; IeeeMode: 1
; LDSByteSize: 3072 bytes/workgroup (compile time only)
; SGPRBlocks: 1
; VGPRBlocks: 0
; NumSGPRsForWavesPerEU: 16
; NumVGPRsForWavesPerEU: 8
; AccumOffset: 8
; Occupancy: 8
; WaveLimiterHint : 1
; COMPUTE_PGM_RSRC2:SCRATCH_EN: 0
; COMPUTE_PGM_RSRC2:USER_SGPR: 6
; COMPUTE_PGM_RSRC2:TRAP_HANDLER: 0
; COMPUTE_PGM_RSRC2:TGID_X_EN: 1
; COMPUTE_PGM_RSRC2:TGID_Y_EN: 0
; COMPUTE_PGM_RSRC2:TGID_Z_EN: 0
; COMPUTE_PGM_RSRC2:TIDIG_COMP_CNT: 0
; COMPUTE_PGM_RSRC3_GFX90A:ACCUM_OFFSET: 1
; COMPUTE_PGM_RSRC3_GFX90A:TG_SPLIT: 0
	.section	.text._Z6kernelI18scatter_to_stripediLj256ELj4ELj100EEvPKT0_PKjPS1_,"axG",@progbits,_Z6kernelI18scatter_to_stripediLj256ELj4ELj100EEvPKT0_PKjPS1_,comdat
	.protected	_Z6kernelI18scatter_to_stripediLj256ELj4ELj100EEvPKT0_PKjPS1_ ; -- Begin function _Z6kernelI18scatter_to_stripediLj256ELj4ELj100EEvPKT0_PKjPS1_
	.globl	_Z6kernelI18scatter_to_stripediLj256ELj4ELj100EEvPKT0_PKjPS1_
	.p2align	8
	.type	_Z6kernelI18scatter_to_stripediLj256ELj4ELj100EEvPKT0_PKjPS1_,@function
_Z6kernelI18scatter_to_stripediLj256ELj4ELj100EEvPKT0_PKjPS1_: ; @_Z6kernelI18scatter_to_stripediLj256ELj4ELj100EEvPKT0_PKjPS1_
; %bb.0:
	s_load_dwordx4 s[8:11], s[4:5], 0x0
	s_load_dwordx2 s[0:1], s[4:5], 0x10
	s_lshl_b32 s2, s6, 10
	s_mov_b32 s3, 0
	s_lshl_b64 s[2:3], s[2:3], 2
	s_waitcnt lgkmcnt(0)
	s_add_u32 s4, s8, s2
	s_addc_u32 s5, s9, s3
	s_add_u32 s6, s10, s2
	v_lshlrev_b32_e32 v1, 2, v0
	s_addc_u32 s7, s11, s3
	global_load_dword v6, v1, s[6:7]
	global_load_dword v7, v1, s[6:7] offset:1024
	global_load_dword v8, v1, s[6:7] offset:2048
	;; [unrolled: 1-line block ×3, first 2 shown]
	global_load_dword v2, v1, s[4:5]
	global_load_dword v3, v1, s[4:5] offset:1024
	global_load_dword v4, v1, s[4:5] offset:2048
	;; [unrolled: 1-line block ×3, first 2 shown]
	s_movk_i32 s4, 0x64
	s_waitcnt vmcnt(7)
	v_lshlrev_b32_e32 v6, 2, v6
	s_waitcnt vmcnt(6)
	v_lshlrev_b32_e32 v7, 2, v7
	;; [unrolled: 2-line block ×4, first 2 shown]
.LBB153_1:                              ; =>This Inner Loop Header: Depth=1
	s_waitcnt vmcnt(3)
	ds_write_b32 v6, v2
	s_waitcnt vmcnt(2)
	ds_write_b32 v7, v3
	;; [unrolled: 2-line block ×4, first 2 shown]
	s_waitcnt lgkmcnt(0)
	s_barrier
	ds_read2st64_b32 v[2:3], v1 offset1:4
	ds_read2st64_b32 v[4:5], v1 offset0:8 offset1:12
	s_add_i32 s4, s4, -1
	s_cmp_lg_u32 s4, 0
	s_waitcnt lgkmcnt(0)
	s_barrier
	s_cbranch_scc1 .LBB153_1
; %bb.2:
	s_add_u32 s0, s0, s2
	s_addc_u32 s1, s1, s3
	v_lshlrev_b32_e32 v0, 2, v0
	global_store_dword v0, v2, s[0:1]
	global_store_dword v0, v3, s[0:1] offset:1024
	global_store_dword v0, v4, s[0:1] offset:2048
	;; [unrolled: 1-line block ×3, first 2 shown]
	s_endpgm
	.section	.rodata,"a",@progbits
	.p2align	6, 0x0
	.amdhsa_kernel _Z6kernelI18scatter_to_stripediLj256ELj4ELj100EEvPKT0_PKjPS1_
		.amdhsa_group_segment_fixed_size 4224
		.amdhsa_private_segment_fixed_size 0
		.amdhsa_kernarg_size 24
		.amdhsa_user_sgpr_count 6
		.amdhsa_user_sgpr_private_segment_buffer 1
		.amdhsa_user_sgpr_dispatch_ptr 0
		.amdhsa_user_sgpr_queue_ptr 0
		.amdhsa_user_sgpr_kernarg_segment_ptr 1
		.amdhsa_user_sgpr_dispatch_id 0
		.amdhsa_user_sgpr_flat_scratch_init 0
		.amdhsa_user_sgpr_kernarg_preload_length 0
		.amdhsa_user_sgpr_kernarg_preload_offset 0
		.amdhsa_user_sgpr_private_segment_size 0
		.amdhsa_uses_dynamic_stack 0
		.amdhsa_system_sgpr_private_segment_wavefront_offset 0
		.amdhsa_system_sgpr_workgroup_id_x 1
		.amdhsa_system_sgpr_workgroup_id_y 0
		.amdhsa_system_sgpr_workgroup_id_z 0
		.amdhsa_system_sgpr_workgroup_info 0
		.amdhsa_system_vgpr_workitem_id 0
		.amdhsa_next_free_vgpr 10
		.amdhsa_next_free_sgpr 12
		.amdhsa_accum_offset 12
		.amdhsa_reserve_vcc 0
		.amdhsa_reserve_flat_scratch 0
		.amdhsa_float_round_mode_32 0
		.amdhsa_float_round_mode_16_64 0
		.amdhsa_float_denorm_mode_32 3
		.amdhsa_float_denorm_mode_16_64 3
		.amdhsa_dx10_clamp 1
		.amdhsa_ieee_mode 1
		.amdhsa_fp16_overflow 0
		.amdhsa_tg_split 0
		.amdhsa_exception_fp_ieee_invalid_op 0
		.amdhsa_exception_fp_denorm_src 0
		.amdhsa_exception_fp_ieee_div_zero 0
		.amdhsa_exception_fp_ieee_overflow 0
		.amdhsa_exception_fp_ieee_underflow 0
		.amdhsa_exception_fp_ieee_inexact 0
		.amdhsa_exception_int_div_zero 0
	.end_amdhsa_kernel
	.section	.text._Z6kernelI18scatter_to_stripediLj256ELj4ELj100EEvPKT0_PKjPS1_,"axG",@progbits,_Z6kernelI18scatter_to_stripediLj256ELj4ELj100EEvPKT0_PKjPS1_,comdat
.Lfunc_end153:
	.size	_Z6kernelI18scatter_to_stripediLj256ELj4ELj100EEvPKT0_PKjPS1_, .Lfunc_end153-_Z6kernelI18scatter_to_stripediLj256ELj4ELj100EEvPKT0_PKjPS1_
                                        ; -- End function
	.section	.AMDGPU.csdata,"",@progbits
; Kernel info:
; codeLenInByte = 292
; NumSgprs: 16
; NumVgprs: 10
; NumAgprs: 0
; TotalNumVgprs: 10
; ScratchSize: 0
; MemoryBound: 0
; FloatMode: 240
; IeeeMode: 1
; LDSByteSize: 4224 bytes/workgroup (compile time only)
; SGPRBlocks: 1
; VGPRBlocks: 1
; NumSGPRsForWavesPerEU: 16
; NumVGPRsForWavesPerEU: 10
; AccumOffset: 12
; Occupancy: 8
; WaveLimiterHint : 1
; COMPUTE_PGM_RSRC2:SCRATCH_EN: 0
; COMPUTE_PGM_RSRC2:USER_SGPR: 6
; COMPUTE_PGM_RSRC2:TRAP_HANDLER: 0
; COMPUTE_PGM_RSRC2:TGID_X_EN: 1
; COMPUTE_PGM_RSRC2:TGID_Y_EN: 0
; COMPUTE_PGM_RSRC2:TGID_Z_EN: 0
; COMPUTE_PGM_RSRC2:TIDIG_COMP_CNT: 0
; COMPUTE_PGM_RSRC3_GFX90A:ACCUM_OFFSET: 2
; COMPUTE_PGM_RSRC3_GFX90A:TG_SPLIT: 0
	.section	.text._Z6kernelI18scatter_to_stripediLj256ELj7ELj100EEvPKT0_PKjPS1_,"axG",@progbits,_Z6kernelI18scatter_to_stripediLj256ELj7ELj100EEvPKT0_PKjPS1_,comdat
	.protected	_Z6kernelI18scatter_to_stripediLj256ELj7ELj100EEvPKT0_PKjPS1_ ; -- Begin function _Z6kernelI18scatter_to_stripediLj256ELj7ELj100EEvPKT0_PKjPS1_
	.globl	_Z6kernelI18scatter_to_stripediLj256ELj7ELj100EEvPKT0_PKjPS1_
	.p2align	8
	.type	_Z6kernelI18scatter_to_stripediLj256ELj7ELj100EEvPKT0_PKjPS1_,@function
_Z6kernelI18scatter_to_stripediLj256ELj7ELj100EEvPKT0_PKjPS1_: ; @_Z6kernelI18scatter_to_stripediLj256ELj7ELj100EEvPKT0_PKjPS1_
; %bb.0:
	s_load_dwordx4 s[8:11], s[4:5], 0x0
	s_load_dwordx2 s[0:1], s[4:5], 0x10
	s_mul_i32 s2, s6, 0x700
	s_mov_b32 s3, 0
	s_lshl_b64 s[2:3], s[2:3], 2
	s_waitcnt lgkmcnt(0)
	s_add_u32 s4, s8, s2
	s_addc_u32 s5, s9, s3
	v_lshlrev_b32_e32 v1, 2, v0
	v_mov_b32_e32 v2, s5
	v_add_co_u32_e32 v3, vcc, s4, v1
	v_addc_co_u32_e32 v2, vcc, 0, v2, vcc
	s_movk_i32 s6, 0x1000
	v_add_co_u32_e32 v10, vcc, s6, v3
	s_add_u32 s6, s10, s2
	v_addc_co_u32_e32 v11, vcc, 0, v2, vcc
	s_addc_u32 s7, s11, s3
	v_mov_b32_e32 v2, s7
	v_add_co_u32_e32 v6, vcc, s6, v1
	v_addc_co_u32_e32 v7, vcc, 0, v2, vcc
	global_load_dword v2, v1, s[4:5]
	global_load_dword v3, v1, s[4:5] offset:1024
	global_load_dword v4, v1, s[4:5] offset:2048
	;; [unrolled: 1-line block ×3, first 2 shown]
	global_load_dword v9, v1, s[6:7]
	global_load_dword v14, v1, s[6:7] offset:1024
	global_load_dword v15, v1, s[6:7] offset:2048
	;; [unrolled: 1-line block ×3, first 2 shown]
	v_add_co_u32_e32 v12, vcc, 0x1000, v6
	v_addc_co_u32_e32 v13, vcc, 0, v7, vcc
	global_load_dword v17, v[12:13], off
	global_load_dword v18, v[12:13], off offset:1024
	global_load_dword v19, v[12:13], off offset:2048
	global_load_dword v6, v[10:11], off
	global_load_dword v7, v[10:11], off offset:1024
	global_load_dword v8, v[10:11], off offset:2048
	s_movk_i32 s4, 0x64
	s_waitcnt vmcnt(9)
	v_lshlrev_b32_e32 v9, 2, v9
	s_waitcnt vmcnt(8)
	v_lshlrev_b32_e32 v10, 2, v14
	;; [unrolled: 2-line block ×7, first 2 shown]
.LBB154_1:                              ; =>This Inner Loop Header: Depth=1
	ds_write_b32 v9, v2
	ds_write_b32 v10, v3
	;; [unrolled: 1-line block ×4, first 2 shown]
	s_waitcnt vmcnt(2)
	ds_write_b32 v13, v6
	s_waitcnt vmcnt(1)
	ds_write_b32 v14, v7
	;; [unrolled: 2-line block ×3, first 2 shown]
	s_waitcnt lgkmcnt(0)
	s_barrier
	ds_read2st64_b32 v[2:3], v1 offset1:4
	ds_read2st64_b32 v[4:5], v1 offset0:8 offset1:12
	ds_read2st64_b32 v[6:7], v1 offset0:16 offset1:20
	ds_read_b32 v8, v1 offset:6144
	s_add_i32 s4, s4, -1
	s_cmp_lg_u32 s4, 0
	s_waitcnt lgkmcnt(0)
	s_barrier
	s_cbranch_scc1 .LBB154_1
; %bb.2:
	s_add_u32 s0, s0, s2
	s_addc_u32 s1, s1, s3
	v_lshlrev_b32_e32 v0, 2, v0
	v_mov_b32_e32 v1, s1
	v_add_co_u32_e32 v9, vcc, s0, v0
	v_addc_co_u32_e32 v1, vcc, 0, v1, vcc
	global_store_dword v0, v2, s[0:1]
	global_store_dword v0, v3, s[0:1] offset:1024
	global_store_dword v0, v4, s[0:1] offset:2048
	;; [unrolled: 1-line block ×3, first 2 shown]
	v_add_co_u32_e32 v0, vcc, 0x1000, v9
	v_addc_co_u32_e32 v1, vcc, 0, v1, vcc
	global_store_dword v[0:1], v6, off
	global_store_dword v[0:1], v7, off offset:1024
	global_store_dword v[0:1], v8, off offset:2048
	s_endpgm
	.section	.rodata,"a",@progbits
	.p2align	6, 0x0
	.amdhsa_kernel _Z6kernelI18scatter_to_stripediLj256ELj7ELj100EEvPKT0_PKjPS1_
		.amdhsa_group_segment_fixed_size 7168
		.amdhsa_private_segment_fixed_size 0
		.amdhsa_kernarg_size 24
		.amdhsa_user_sgpr_count 6
		.amdhsa_user_sgpr_private_segment_buffer 1
		.amdhsa_user_sgpr_dispatch_ptr 0
		.amdhsa_user_sgpr_queue_ptr 0
		.amdhsa_user_sgpr_kernarg_segment_ptr 1
		.amdhsa_user_sgpr_dispatch_id 0
		.amdhsa_user_sgpr_flat_scratch_init 0
		.amdhsa_user_sgpr_kernarg_preload_length 0
		.amdhsa_user_sgpr_kernarg_preload_offset 0
		.amdhsa_user_sgpr_private_segment_size 0
		.amdhsa_uses_dynamic_stack 0
		.amdhsa_system_sgpr_private_segment_wavefront_offset 0
		.amdhsa_system_sgpr_workgroup_id_x 1
		.amdhsa_system_sgpr_workgroup_id_y 0
		.amdhsa_system_sgpr_workgroup_id_z 0
		.amdhsa_system_sgpr_workgroup_info 0
		.amdhsa_system_vgpr_workitem_id 0
		.amdhsa_next_free_vgpr 20
		.amdhsa_next_free_sgpr 12
		.amdhsa_accum_offset 20
		.amdhsa_reserve_vcc 1
		.amdhsa_reserve_flat_scratch 0
		.amdhsa_float_round_mode_32 0
		.amdhsa_float_round_mode_16_64 0
		.amdhsa_float_denorm_mode_32 3
		.amdhsa_float_denorm_mode_16_64 3
		.amdhsa_dx10_clamp 1
		.amdhsa_ieee_mode 1
		.amdhsa_fp16_overflow 0
		.amdhsa_tg_split 0
		.amdhsa_exception_fp_ieee_invalid_op 0
		.amdhsa_exception_fp_denorm_src 0
		.amdhsa_exception_fp_ieee_div_zero 0
		.amdhsa_exception_fp_ieee_overflow 0
		.amdhsa_exception_fp_ieee_underflow 0
		.amdhsa_exception_fp_ieee_inexact 0
		.amdhsa_exception_int_div_zero 0
	.end_amdhsa_kernel
	.section	.text._Z6kernelI18scatter_to_stripediLj256ELj7ELj100EEvPKT0_PKjPS1_,"axG",@progbits,_Z6kernelI18scatter_to_stripediLj256ELj7ELj100EEvPKT0_PKjPS1_,comdat
.Lfunc_end154:
	.size	_Z6kernelI18scatter_to_stripediLj256ELj7ELj100EEvPKT0_PKjPS1_, .Lfunc_end154-_Z6kernelI18scatter_to_stripediLj256ELj7ELj100EEvPKT0_PKjPS1_
                                        ; -- End function
	.section	.AMDGPU.csdata,"",@progbits
; Kernel info:
; codeLenInByte = 500
; NumSgprs: 16
; NumVgprs: 20
; NumAgprs: 0
; TotalNumVgprs: 20
; ScratchSize: 0
; MemoryBound: 0
; FloatMode: 240
; IeeeMode: 1
; LDSByteSize: 7168 bytes/workgroup (compile time only)
; SGPRBlocks: 1
; VGPRBlocks: 2
; NumSGPRsForWavesPerEU: 16
; NumVGPRsForWavesPerEU: 20
; AccumOffset: 20
; Occupancy: 8
; WaveLimiterHint : 1
; COMPUTE_PGM_RSRC2:SCRATCH_EN: 0
; COMPUTE_PGM_RSRC2:USER_SGPR: 6
; COMPUTE_PGM_RSRC2:TRAP_HANDLER: 0
; COMPUTE_PGM_RSRC2:TGID_X_EN: 1
; COMPUTE_PGM_RSRC2:TGID_Y_EN: 0
; COMPUTE_PGM_RSRC2:TGID_Z_EN: 0
; COMPUTE_PGM_RSRC2:TIDIG_COMP_CNT: 0
; COMPUTE_PGM_RSRC3_GFX90A:ACCUM_OFFSET: 4
; COMPUTE_PGM_RSRC3_GFX90A:TG_SPLIT: 0
	.section	.text._Z6kernelI18scatter_to_stripediLj256ELj8ELj100EEvPKT0_PKjPS1_,"axG",@progbits,_Z6kernelI18scatter_to_stripediLj256ELj8ELj100EEvPKT0_PKjPS1_,comdat
	.protected	_Z6kernelI18scatter_to_stripediLj256ELj8ELj100EEvPKT0_PKjPS1_ ; -- Begin function _Z6kernelI18scatter_to_stripediLj256ELj8ELj100EEvPKT0_PKjPS1_
	.globl	_Z6kernelI18scatter_to_stripediLj256ELj8ELj100EEvPKT0_PKjPS1_
	.p2align	8
	.type	_Z6kernelI18scatter_to_stripediLj256ELj8ELj100EEvPKT0_PKjPS1_,@function
_Z6kernelI18scatter_to_stripediLj256ELj8ELj100EEvPKT0_PKjPS1_: ; @_Z6kernelI18scatter_to_stripediLj256ELj8ELj100EEvPKT0_PKjPS1_
; %bb.0:
	s_load_dwordx4 s[8:11], s[4:5], 0x0
	s_load_dwordx2 s[0:1], s[4:5], 0x10
	s_lshl_b32 s2, s6, 11
	s_mov_b32 s3, 0
	s_lshl_b64 s[2:3], s[2:3], 2
	s_waitcnt lgkmcnt(0)
	s_add_u32 s4, s8, s2
	s_addc_u32 s5, s9, s3
	v_lshlrev_b32_e32 v1, 2, v0
	v_mov_b32_e32 v2, s5
	v_add_co_u32_e32 v3, vcc, s4, v1
	v_addc_co_u32_e32 v2, vcc, 0, v2, vcc
	s_movk_i32 s8, 0x1000
	v_add_co_u32_e32 v10, vcc, s8, v3
	s_add_u32 s6, s10, s2
	v_addc_co_u32_e32 v11, vcc, 0, v2, vcc
	s_addc_u32 s7, s11, s3
	v_mov_b32_e32 v2, s7
	v_add_co_u32_e32 v6, vcc, s6, v1
	v_addc_co_u32_e32 v7, vcc, 0, v2, vcc
	global_load_dword v2, v1, s[4:5]
	global_load_dword v3, v1, s[4:5] offset:1024
	global_load_dword v4, v1, s[4:5] offset:2048
	;; [unrolled: 1-line block ×3, first 2 shown]
	global_load_dword v14, v1, s[6:7]
	global_load_dword v15, v1, s[6:7] offset:1024
	global_load_dword v16, v1, s[6:7] offset:2048
	;; [unrolled: 1-line block ×3, first 2 shown]
	v_add_co_u32_e32 v12, vcc, s8, v6
	v_addc_co_u32_e32 v13, vcc, 0, v7, vcc
	global_load_dword v18, v[12:13], off
	global_load_dword v19, v[12:13], off offset:1024
	global_load_dword v20, v[12:13], off offset:2048
	;; [unrolled: 1-line block ×3, first 2 shown]
	global_load_dword v6, v[10:11], off
	global_load_dword v7, v[10:11], off offset:1024
	global_load_dword v8, v[10:11], off offset:2048
	;; [unrolled: 1-line block ×3, first 2 shown]
	s_movk_i32 s4, 0x64
	s_waitcnt vmcnt(11)
	v_lshlrev_b32_e32 v10, 2, v14
	s_waitcnt vmcnt(10)
	v_lshlrev_b32_e32 v11, 2, v15
	;; [unrolled: 2-line block ×8, first 2 shown]
.LBB155_1:                              ; =>This Inner Loop Header: Depth=1
	ds_write_b32 v10, v2
	ds_write_b32 v11, v3
	;; [unrolled: 1-line block ×4, first 2 shown]
	s_waitcnt vmcnt(3)
	ds_write_b32 v14, v6
	s_waitcnt vmcnt(2)
	ds_write_b32 v15, v7
	;; [unrolled: 2-line block ×4, first 2 shown]
	s_waitcnt lgkmcnt(0)
	s_barrier
	ds_read2st64_b32 v[2:3], v1 offset1:4
	ds_read2st64_b32 v[4:5], v1 offset0:8 offset1:12
	ds_read2st64_b32 v[6:7], v1 offset0:16 offset1:20
	;; [unrolled: 1-line block ×3, first 2 shown]
	s_add_i32 s4, s4, -1
	s_cmp_lg_u32 s4, 0
	s_waitcnt lgkmcnt(0)
	s_barrier
	s_cbranch_scc1 .LBB155_1
; %bb.2:
	s_add_u32 s0, s0, s2
	s_addc_u32 s1, s1, s3
	v_lshlrev_b32_e32 v0, 2, v0
	v_mov_b32_e32 v1, s1
	v_add_co_u32_e32 v10, vcc, s0, v0
	v_addc_co_u32_e32 v1, vcc, 0, v1, vcc
	global_store_dword v0, v2, s[0:1]
	global_store_dword v0, v3, s[0:1] offset:1024
	global_store_dword v0, v4, s[0:1] offset:2048
	;; [unrolled: 1-line block ×3, first 2 shown]
	v_add_co_u32_e32 v0, vcc, 0x1000, v10
	v_addc_co_u32_e32 v1, vcc, 0, v1, vcc
	global_store_dword v[0:1], v6, off
	global_store_dword v[0:1], v7, off offset:1024
	global_store_dword v[0:1], v8, off offset:2048
	;; [unrolled: 1-line block ×3, first 2 shown]
	s_endpgm
	.section	.rodata,"a",@progbits
	.p2align	6, 0x0
	.amdhsa_kernel _Z6kernelI18scatter_to_stripediLj256ELj8ELj100EEvPKT0_PKjPS1_
		.amdhsa_group_segment_fixed_size 8448
		.amdhsa_private_segment_fixed_size 0
		.amdhsa_kernarg_size 24
		.amdhsa_user_sgpr_count 6
		.amdhsa_user_sgpr_private_segment_buffer 1
		.amdhsa_user_sgpr_dispatch_ptr 0
		.amdhsa_user_sgpr_queue_ptr 0
		.amdhsa_user_sgpr_kernarg_segment_ptr 1
		.amdhsa_user_sgpr_dispatch_id 0
		.amdhsa_user_sgpr_flat_scratch_init 0
		.amdhsa_user_sgpr_kernarg_preload_length 0
		.amdhsa_user_sgpr_kernarg_preload_offset 0
		.amdhsa_user_sgpr_private_segment_size 0
		.amdhsa_uses_dynamic_stack 0
		.amdhsa_system_sgpr_private_segment_wavefront_offset 0
		.amdhsa_system_sgpr_workgroup_id_x 1
		.amdhsa_system_sgpr_workgroup_id_y 0
		.amdhsa_system_sgpr_workgroup_id_z 0
		.amdhsa_system_sgpr_workgroup_info 0
		.amdhsa_system_vgpr_workitem_id 0
		.amdhsa_next_free_vgpr 22
		.amdhsa_next_free_sgpr 12
		.amdhsa_accum_offset 24
		.amdhsa_reserve_vcc 1
		.amdhsa_reserve_flat_scratch 0
		.amdhsa_float_round_mode_32 0
		.amdhsa_float_round_mode_16_64 0
		.amdhsa_float_denorm_mode_32 3
		.amdhsa_float_denorm_mode_16_64 3
		.amdhsa_dx10_clamp 1
		.amdhsa_ieee_mode 1
		.amdhsa_fp16_overflow 0
		.amdhsa_tg_split 0
		.amdhsa_exception_fp_ieee_invalid_op 0
		.amdhsa_exception_fp_denorm_src 0
		.amdhsa_exception_fp_ieee_div_zero 0
		.amdhsa_exception_fp_ieee_overflow 0
		.amdhsa_exception_fp_ieee_underflow 0
		.amdhsa_exception_fp_ieee_inexact 0
		.amdhsa_exception_int_div_zero 0
	.end_amdhsa_kernel
	.section	.text._Z6kernelI18scatter_to_stripediLj256ELj8ELj100EEvPKT0_PKjPS1_,"axG",@progbits,_Z6kernelI18scatter_to_stripediLj256ELj8ELj100EEvPKT0_PKjPS1_,comdat
.Lfunc_end155:
	.size	_Z6kernelI18scatter_to_stripediLj256ELj8ELj100EEvPKT0_PKjPS1_, .Lfunc_end155-_Z6kernelI18scatter_to_stripediLj256ELj8ELj100EEvPKT0_PKjPS1_
                                        ; -- End function
	.section	.AMDGPU.csdata,"",@progbits
; Kernel info:
; codeLenInByte = 536
; NumSgprs: 16
; NumVgprs: 22
; NumAgprs: 0
; TotalNumVgprs: 22
; ScratchSize: 0
; MemoryBound: 0
; FloatMode: 240
; IeeeMode: 1
; LDSByteSize: 8448 bytes/workgroup (compile time only)
; SGPRBlocks: 1
; VGPRBlocks: 2
; NumSGPRsForWavesPerEU: 16
; NumVGPRsForWavesPerEU: 22
; AccumOffset: 24
; Occupancy: 7
; WaveLimiterHint : 1
; COMPUTE_PGM_RSRC2:SCRATCH_EN: 0
; COMPUTE_PGM_RSRC2:USER_SGPR: 6
; COMPUTE_PGM_RSRC2:TRAP_HANDLER: 0
; COMPUTE_PGM_RSRC2:TGID_X_EN: 1
; COMPUTE_PGM_RSRC2:TGID_Y_EN: 0
; COMPUTE_PGM_RSRC2:TGID_Z_EN: 0
; COMPUTE_PGM_RSRC2:TIDIG_COMP_CNT: 0
; COMPUTE_PGM_RSRC3_GFX90A:ACCUM_OFFSET: 5
; COMPUTE_PGM_RSRC3_GFX90A:TG_SPLIT: 0
	.section	.text._Z6kernelI18scatter_to_stripedaLj256ELj1ELj100EEvPKT0_PKjPS1_,"axG",@progbits,_Z6kernelI18scatter_to_stripedaLj256ELj1ELj100EEvPKT0_PKjPS1_,comdat
	.protected	_Z6kernelI18scatter_to_stripedaLj256ELj1ELj100EEvPKT0_PKjPS1_ ; -- Begin function _Z6kernelI18scatter_to_stripedaLj256ELj1ELj100EEvPKT0_PKjPS1_
	.globl	_Z6kernelI18scatter_to_stripedaLj256ELj1ELj100EEvPKT0_PKjPS1_
	.p2align	8
	.type	_Z6kernelI18scatter_to_stripedaLj256ELj1ELj100EEvPKT0_PKjPS1_,@function
_Z6kernelI18scatter_to_stripedaLj256ELj1ELj100EEvPKT0_PKjPS1_: ; @_Z6kernelI18scatter_to_stripedaLj256ELj1ELj100EEvPKT0_PKjPS1_
; %bb.0:
	s_load_dwordx4 s[8:11], s[4:5], 0x0
	s_load_dwordx2 s[0:1], s[4:5], 0x10
	s_lshl_b32 s2, s6, 8
	s_mov_b32 s3, 0
	v_lshlrev_b32_e32 v2, 2, v0
	s_waitcnt lgkmcnt(0)
	s_add_u32 s4, s8, s2
	s_addc_u32 s5, s9, 0
	global_load_ubyte v1, v0, s[4:5]
	s_lshl_b64 s[4:5], s[2:3], 2
	s_add_u32 s4, s10, s4
	s_addc_u32 s5, s11, s5
	global_load_dword v2, v2, s[4:5]
	s_movk_i32 s3, 0x64
.LBB156_1:                              ; =>This Inner Loop Header: Depth=1
	s_waitcnt vmcnt(0)
	ds_write_b8 v2, v1
	s_waitcnt lgkmcnt(0)
	s_barrier
	ds_read_u8 v1, v0
	s_add_i32 s3, s3, -1
	s_cmp_lg_u32 s3, 0
	s_waitcnt lgkmcnt(0)
	s_barrier
	s_cbranch_scc1 .LBB156_1
; %bb.2:
	s_add_u32 s0, s0, s2
	s_addc_u32 s1, s1, 0
	v_mov_b32_e32 v3, s1
	v_add_co_u32_e32 v2, vcc, s0, v0
	v_addc_co_u32_e32 v3, vcc, 0, v3, vcc
	global_store_byte v[2:3], v1, off
	s_endpgm
	.section	.rodata,"a",@progbits
	.p2align	6, 0x0
	.amdhsa_kernel _Z6kernelI18scatter_to_stripedaLj256ELj1ELj100EEvPKT0_PKjPS1_
		.amdhsa_group_segment_fixed_size 256
		.amdhsa_private_segment_fixed_size 0
		.amdhsa_kernarg_size 24
		.amdhsa_user_sgpr_count 6
		.amdhsa_user_sgpr_private_segment_buffer 1
		.amdhsa_user_sgpr_dispatch_ptr 0
		.amdhsa_user_sgpr_queue_ptr 0
		.amdhsa_user_sgpr_kernarg_segment_ptr 1
		.amdhsa_user_sgpr_dispatch_id 0
		.amdhsa_user_sgpr_flat_scratch_init 0
		.amdhsa_user_sgpr_kernarg_preload_length 0
		.amdhsa_user_sgpr_kernarg_preload_offset 0
		.amdhsa_user_sgpr_private_segment_size 0
		.amdhsa_uses_dynamic_stack 0
		.amdhsa_system_sgpr_private_segment_wavefront_offset 0
		.amdhsa_system_sgpr_workgroup_id_x 1
		.amdhsa_system_sgpr_workgroup_id_y 0
		.amdhsa_system_sgpr_workgroup_id_z 0
		.amdhsa_system_sgpr_workgroup_info 0
		.amdhsa_system_vgpr_workitem_id 0
		.amdhsa_next_free_vgpr 4
		.amdhsa_next_free_sgpr 12
		.amdhsa_accum_offset 4
		.amdhsa_reserve_vcc 1
		.amdhsa_reserve_flat_scratch 0
		.amdhsa_float_round_mode_32 0
		.amdhsa_float_round_mode_16_64 0
		.amdhsa_float_denorm_mode_32 3
		.amdhsa_float_denorm_mode_16_64 3
		.amdhsa_dx10_clamp 1
		.amdhsa_ieee_mode 1
		.amdhsa_fp16_overflow 0
		.amdhsa_tg_split 0
		.amdhsa_exception_fp_ieee_invalid_op 0
		.amdhsa_exception_fp_denorm_src 0
		.amdhsa_exception_fp_ieee_div_zero 0
		.amdhsa_exception_fp_ieee_overflow 0
		.amdhsa_exception_fp_ieee_underflow 0
		.amdhsa_exception_fp_ieee_inexact 0
		.amdhsa_exception_int_div_zero 0
	.end_amdhsa_kernel
	.section	.text._Z6kernelI18scatter_to_stripedaLj256ELj1ELj100EEvPKT0_PKjPS1_,"axG",@progbits,_Z6kernelI18scatter_to_stripedaLj256ELj1ELj100EEvPKT0_PKjPS1_,comdat
.Lfunc_end156:
	.size	_Z6kernelI18scatter_to_stripedaLj256ELj1ELj100EEvPKT0_PKjPS1_, .Lfunc_end156-_Z6kernelI18scatter_to_stripedaLj256ELj1ELj100EEvPKT0_PKjPS1_
                                        ; -- End function
	.section	.AMDGPU.csdata,"",@progbits
; Kernel info:
; codeLenInByte = 152
; NumSgprs: 16
; NumVgprs: 4
; NumAgprs: 0
; TotalNumVgprs: 4
; ScratchSize: 0
; MemoryBound: 0
; FloatMode: 240
; IeeeMode: 1
; LDSByteSize: 256 bytes/workgroup (compile time only)
; SGPRBlocks: 1
; VGPRBlocks: 0
; NumSGPRsForWavesPerEU: 16
; NumVGPRsForWavesPerEU: 4
; AccumOffset: 4
; Occupancy: 8
; WaveLimiterHint : 0
; COMPUTE_PGM_RSRC2:SCRATCH_EN: 0
; COMPUTE_PGM_RSRC2:USER_SGPR: 6
; COMPUTE_PGM_RSRC2:TRAP_HANDLER: 0
; COMPUTE_PGM_RSRC2:TGID_X_EN: 1
; COMPUTE_PGM_RSRC2:TGID_Y_EN: 0
; COMPUTE_PGM_RSRC2:TGID_Z_EN: 0
; COMPUTE_PGM_RSRC2:TIDIG_COMP_CNT: 0
; COMPUTE_PGM_RSRC3_GFX90A:ACCUM_OFFSET: 0
; COMPUTE_PGM_RSRC3_GFX90A:TG_SPLIT: 0
	.section	.text._Z6kernelI18scatter_to_stripedaLj256ELj2ELj100EEvPKT0_PKjPS1_,"axG",@progbits,_Z6kernelI18scatter_to_stripedaLj256ELj2ELj100EEvPKT0_PKjPS1_,comdat
	.protected	_Z6kernelI18scatter_to_stripedaLj256ELj2ELj100EEvPKT0_PKjPS1_ ; -- Begin function _Z6kernelI18scatter_to_stripedaLj256ELj2ELj100EEvPKT0_PKjPS1_
	.globl	_Z6kernelI18scatter_to_stripedaLj256ELj2ELj100EEvPKT0_PKjPS1_
	.p2align	8
	.type	_Z6kernelI18scatter_to_stripedaLj256ELj2ELj100EEvPKT0_PKjPS1_,@function
_Z6kernelI18scatter_to_stripedaLj256ELj2ELj100EEvPKT0_PKjPS1_: ; @_Z6kernelI18scatter_to_stripedaLj256ELj2ELj100EEvPKT0_PKjPS1_
; %bb.0:
	s_load_dwordx4 s[8:11], s[4:5], 0x0
	s_load_dwordx2 s[0:1], s[4:5], 0x10
	s_lshl_b32 s2, s6, 9
	s_mov_b32 s3, 0
	v_lshlrev_b32_e32 v5, 2, v0
	s_waitcnt lgkmcnt(0)
	s_add_u32 s4, s8, s2
	s_addc_u32 s5, s9, 0
	global_load_ubyte v3, v0, s[4:5]
	global_load_ubyte v4, v0, s[4:5] offset:256
	s_lshl_b64 s[4:5], s[2:3], 2
	s_add_u32 s4, s10, s4
	s_addc_u32 s5, s11, s5
	global_load_dword v1, v5, s[4:5]
	global_load_dword v2, v5, s[4:5] offset:1024
	s_movk_i32 s3, 0x64
	s_waitcnt vmcnt(2)
	v_lshlrev_b16_e32 v4, 8, v4
	v_or_b32_e32 v3, v3, v4
	v_and_b32_e32 v5, 0xffff, v3
.LBB157_1:                              ; =>This Inner Loop Header: Depth=1
	v_lshrrev_b16_e32 v3, 8, v5
	s_waitcnt vmcnt(1)
	ds_write_b8 v1, v5
	s_waitcnt vmcnt(0)
	ds_write_b8 v2, v3
	s_waitcnt lgkmcnt(0)
	s_barrier
	ds_read_u8 v3, v0 offset:256
	ds_read_u8 v4, v0
	s_add_i32 s3, s3, -1
	s_cmp_lg_u32 s3, 0
	s_waitcnt lgkmcnt(0)
	v_lshlrev_b16_e32 v5, 8, v3
	v_or_b32_e32 v5, v4, v5
	v_and_b32_e32 v5, 0xffff, v5
	s_barrier
	s_cbranch_scc1 .LBB157_1
; %bb.2:
	s_add_u32 s0, s0, s2
	s_addc_u32 s1, s1, 0
	v_mov_b32_e32 v1, s1
	v_add_co_u32_e32 v0, vcc, s0, v0
	v_addc_co_u32_e32 v1, vcc, 0, v1, vcc
	global_store_byte v[0:1], v4, off
	global_store_byte v[0:1], v3, off offset:256
	s_endpgm
	.section	.rodata,"a",@progbits
	.p2align	6, 0x0
	.amdhsa_kernel _Z6kernelI18scatter_to_stripedaLj256ELj2ELj100EEvPKT0_PKjPS1_
		.amdhsa_group_segment_fixed_size 528
		.amdhsa_private_segment_fixed_size 0
		.amdhsa_kernarg_size 24
		.amdhsa_user_sgpr_count 6
		.amdhsa_user_sgpr_private_segment_buffer 1
		.amdhsa_user_sgpr_dispatch_ptr 0
		.amdhsa_user_sgpr_queue_ptr 0
		.amdhsa_user_sgpr_kernarg_segment_ptr 1
		.amdhsa_user_sgpr_dispatch_id 0
		.amdhsa_user_sgpr_flat_scratch_init 0
		.amdhsa_user_sgpr_kernarg_preload_length 0
		.amdhsa_user_sgpr_kernarg_preload_offset 0
		.amdhsa_user_sgpr_private_segment_size 0
		.amdhsa_uses_dynamic_stack 0
		.amdhsa_system_sgpr_private_segment_wavefront_offset 0
		.amdhsa_system_sgpr_workgroup_id_x 1
		.amdhsa_system_sgpr_workgroup_id_y 0
		.amdhsa_system_sgpr_workgroup_id_z 0
		.amdhsa_system_sgpr_workgroup_info 0
		.amdhsa_system_vgpr_workitem_id 0
		.amdhsa_next_free_vgpr 6
		.amdhsa_next_free_sgpr 12
		.amdhsa_accum_offset 8
		.amdhsa_reserve_vcc 1
		.amdhsa_reserve_flat_scratch 0
		.amdhsa_float_round_mode_32 0
		.amdhsa_float_round_mode_16_64 0
		.amdhsa_float_denorm_mode_32 3
		.amdhsa_float_denorm_mode_16_64 3
		.amdhsa_dx10_clamp 1
		.amdhsa_ieee_mode 1
		.amdhsa_fp16_overflow 0
		.amdhsa_tg_split 0
		.amdhsa_exception_fp_ieee_invalid_op 0
		.amdhsa_exception_fp_denorm_src 0
		.amdhsa_exception_fp_ieee_div_zero 0
		.amdhsa_exception_fp_ieee_overflow 0
		.amdhsa_exception_fp_ieee_underflow 0
		.amdhsa_exception_fp_ieee_inexact 0
		.amdhsa_exception_int_div_zero 0
	.end_amdhsa_kernel
	.section	.text._Z6kernelI18scatter_to_stripedaLj256ELj2ELj100EEvPKT0_PKjPS1_,"axG",@progbits,_Z6kernelI18scatter_to_stripedaLj256ELj2ELj100EEvPKT0_PKjPS1_,comdat
.Lfunc_end157:
	.size	_Z6kernelI18scatter_to_stripedaLj256ELj2ELj100EEvPKT0_PKjPS1_, .Lfunc_end157-_Z6kernelI18scatter_to_stripedaLj256ELj2ELj100EEvPKT0_PKjPS1_
                                        ; -- End function
	.section	.AMDGPU.csdata,"",@progbits
; Kernel info:
; codeLenInByte = 236
; NumSgprs: 16
; NumVgprs: 6
; NumAgprs: 0
; TotalNumVgprs: 6
; ScratchSize: 0
; MemoryBound: 0
; FloatMode: 240
; IeeeMode: 1
; LDSByteSize: 528 bytes/workgroup (compile time only)
; SGPRBlocks: 1
; VGPRBlocks: 0
; NumSGPRsForWavesPerEU: 16
; NumVGPRsForWavesPerEU: 6
; AccumOffset: 8
; Occupancy: 8
; WaveLimiterHint : 1
; COMPUTE_PGM_RSRC2:SCRATCH_EN: 0
; COMPUTE_PGM_RSRC2:USER_SGPR: 6
; COMPUTE_PGM_RSRC2:TRAP_HANDLER: 0
; COMPUTE_PGM_RSRC2:TGID_X_EN: 1
; COMPUTE_PGM_RSRC2:TGID_Y_EN: 0
; COMPUTE_PGM_RSRC2:TGID_Z_EN: 0
; COMPUTE_PGM_RSRC2:TIDIG_COMP_CNT: 0
; COMPUTE_PGM_RSRC3_GFX90A:ACCUM_OFFSET: 1
; COMPUTE_PGM_RSRC3_GFX90A:TG_SPLIT: 0
	.section	.text._Z6kernelI18scatter_to_stripedaLj256ELj3ELj100EEvPKT0_PKjPS1_,"axG",@progbits,_Z6kernelI18scatter_to_stripedaLj256ELj3ELj100EEvPKT0_PKjPS1_,comdat
	.protected	_Z6kernelI18scatter_to_stripedaLj256ELj3ELj100EEvPKT0_PKjPS1_ ; -- Begin function _Z6kernelI18scatter_to_stripedaLj256ELj3ELj100EEvPKT0_PKjPS1_
	.globl	_Z6kernelI18scatter_to_stripedaLj256ELj3ELj100EEvPKT0_PKjPS1_
	.p2align	8
	.type	_Z6kernelI18scatter_to_stripedaLj256ELj3ELj100EEvPKT0_PKjPS1_,@function
_Z6kernelI18scatter_to_stripedaLj256ELj3ELj100EEvPKT0_PKjPS1_: ; @_Z6kernelI18scatter_to_stripedaLj256ELj3ELj100EEvPKT0_PKjPS1_
; %bb.0:
	s_load_dwordx4 s[8:11], s[4:5], 0x0
	s_load_dwordx2 s[0:1], s[4:5], 0x10
	s_mul_i32 s2, s6, 0x300
	s_mov_b32 s3, 0
	v_lshlrev_b32_e32 v7, 2, v0
	s_waitcnt lgkmcnt(0)
	s_add_u32 s4, s8, s2
	s_addc_u32 s5, s9, 0
	global_load_ubyte v4, v0, s[4:5]
	global_load_ubyte v5, v0, s[4:5] offset:256
	global_load_ubyte v6, v0, s[4:5] offset:512
	s_lshl_b64 s[4:5], s[2:3], 2
	s_add_u32 s4, s10, s4
	s_addc_u32 s5, s11, s5
	global_load_dword v1, v7, s[4:5]
	global_load_dword v2, v7, s[4:5] offset:1024
	global_load_dword v3, v7, s[4:5] offset:2048
	s_movk_i32 s3, 0x64
	s_waitcnt vmcnt(4)
	v_lshlrev_b16_e32 v5, 8, v5
	v_or_b32_e32 v4, v4, v5
	v_and_b32_e32 v4, 0xffff, v4
	s_waitcnt vmcnt(3)
	v_lshl_or_b32 v7, v6, 16, v4
.LBB158_1:                              ; =>This Inner Loop Header: Depth=1
	v_lshrrev_b32_e32 v4, 8, v7
	s_waitcnt vmcnt(2)
	ds_write_b8 v1, v7
	s_waitcnt vmcnt(1)
	ds_write_b8 v2, v4
	s_waitcnt vmcnt(0)
	ds_write_b8_d16_hi v3, v7
	s_waitcnt lgkmcnt(0)
	s_barrier
	ds_read_u8 v4, v0 offset:256
	ds_read_u8 v6, v0
	ds_read_u8 v5, v0 offset:512
	s_add_i32 s3, s3, -1
	s_cmp_lg_u32 s3, 0
	s_waitcnt lgkmcnt(2)
	v_lshlrev_b16_e32 v7, 8, v4
	s_waitcnt lgkmcnt(1)
	v_or_b32_e32 v7, v6, v7
	s_waitcnt lgkmcnt(0)
	v_lshlrev_b32_e32 v8, 16, v5
	v_or_b32_sdwa v7, v7, v8 dst_sel:DWORD dst_unused:UNUSED_PAD src0_sel:WORD_0 src1_sel:DWORD
	s_barrier
	s_cbranch_scc1 .LBB158_1
; %bb.2:
	s_add_u32 s0, s0, s2
	s_addc_u32 s1, s1, 0
	v_mov_b32_e32 v1, s1
	v_add_co_u32_e32 v0, vcc, s0, v0
	v_addc_co_u32_e32 v1, vcc, 0, v1, vcc
	global_store_byte v[0:1], v6, off
	global_store_byte v[0:1], v4, off offset:256
	global_store_byte v[0:1], v5, off offset:512
	s_endpgm
	.section	.rodata,"a",@progbits
	.p2align	6, 0x0
	.amdhsa_kernel _Z6kernelI18scatter_to_stripedaLj256ELj3ELj100EEvPKT0_PKjPS1_
		.amdhsa_group_segment_fixed_size 768
		.amdhsa_private_segment_fixed_size 0
		.amdhsa_kernarg_size 24
		.amdhsa_user_sgpr_count 6
		.amdhsa_user_sgpr_private_segment_buffer 1
		.amdhsa_user_sgpr_dispatch_ptr 0
		.amdhsa_user_sgpr_queue_ptr 0
		.amdhsa_user_sgpr_kernarg_segment_ptr 1
		.amdhsa_user_sgpr_dispatch_id 0
		.amdhsa_user_sgpr_flat_scratch_init 0
		.amdhsa_user_sgpr_kernarg_preload_length 0
		.amdhsa_user_sgpr_kernarg_preload_offset 0
		.amdhsa_user_sgpr_private_segment_size 0
		.amdhsa_uses_dynamic_stack 0
		.amdhsa_system_sgpr_private_segment_wavefront_offset 0
		.amdhsa_system_sgpr_workgroup_id_x 1
		.amdhsa_system_sgpr_workgroup_id_y 0
		.amdhsa_system_sgpr_workgroup_id_z 0
		.amdhsa_system_sgpr_workgroup_info 0
		.amdhsa_system_vgpr_workitem_id 0
		.amdhsa_next_free_vgpr 9
		.amdhsa_next_free_sgpr 12
		.amdhsa_accum_offset 12
		.amdhsa_reserve_vcc 1
		.amdhsa_reserve_flat_scratch 0
		.amdhsa_float_round_mode_32 0
		.amdhsa_float_round_mode_16_64 0
		.amdhsa_float_denorm_mode_32 3
		.amdhsa_float_denorm_mode_16_64 3
		.amdhsa_dx10_clamp 1
		.amdhsa_ieee_mode 1
		.amdhsa_fp16_overflow 0
		.amdhsa_tg_split 0
		.amdhsa_exception_fp_ieee_invalid_op 0
		.amdhsa_exception_fp_denorm_src 0
		.amdhsa_exception_fp_ieee_div_zero 0
		.amdhsa_exception_fp_ieee_overflow 0
		.amdhsa_exception_fp_ieee_underflow 0
		.amdhsa_exception_fp_ieee_inexact 0
		.amdhsa_exception_int_div_zero 0
	.end_amdhsa_kernel
	.section	.text._Z6kernelI18scatter_to_stripedaLj256ELj3ELj100EEvPKT0_PKjPS1_,"axG",@progbits,_Z6kernelI18scatter_to_stripedaLj256ELj3ELj100EEvPKT0_PKjPS1_,comdat
.Lfunc_end158:
	.size	_Z6kernelI18scatter_to_stripedaLj256ELj3ELj100EEvPKT0_PKjPS1_, .Lfunc_end158-_Z6kernelI18scatter_to_stripedaLj256ELj3ELj100EEvPKT0_PKjPS1_
                                        ; -- End function
	.section	.AMDGPU.csdata,"",@progbits
; Kernel info:
; codeLenInByte = 308
; NumSgprs: 16
; NumVgprs: 9
; NumAgprs: 0
; TotalNumVgprs: 9
; ScratchSize: 0
; MemoryBound: 0
; FloatMode: 240
; IeeeMode: 1
; LDSByteSize: 768 bytes/workgroup (compile time only)
; SGPRBlocks: 1
; VGPRBlocks: 1
; NumSGPRsForWavesPerEU: 16
; NumVGPRsForWavesPerEU: 9
; AccumOffset: 12
; Occupancy: 8
; WaveLimiterHint : 1
; COMPUTE_PGM_RSRC2:SCRATCH_EN: 0
; COMPUTE_PGM_RSRC2:USER_SGPR: 6
; COMPUTE_PGM_RSRC2:TRAP_HANDLER: 0
; COMPUTE_PGM_RSRC2:TGID_X_EN: 1
; COMPUTE_PGM_RSRC2:TGID_Y_EN: 0
; COMPUTE_PGM_RSRC2:TGID_Z_EN: 0
; COMPUTE_PGM_RSRC2:TIDIG_COMP_CNT: 0
; COMPUTE_PGM_RSRC3_GFX90A:ACCUM_OFFSET: 2
; COMPUTE_PGM_RSRC3_GFX90A:TG_SPLIT: 0
	.section	.text._Z6kernelI18scatter_to_stripedaLj256ELj4ELj100EEvPKT0_PKjPS1_,"axG",@progbits,_Z6kernelI18scatter_to_stripedaLj256ELj4ELj100EEvPKT0_PKjPS1_,comdat
	.protected	_Z6kernelI18scatter_to_stripedaLj256ELj4ELj100EEvPKT0_PKjPS1_ ; -- Begin function _Z6kernelI18scatter_to_stripedaLj256ELj4ELj100EEvPKT0_PKjPS1_
	.globl	_Z6kernelI18scatter_to_stripedaLj256ELj4ELj100EEvPKT0_PKjPS1_
	.p2align	8
	.type	_Z6kernelI18scatter_to_stripedaLj256ELj4ELj100EEvPKT0_PKjPS1_,@function
_Z6kernelI18scatter_to_stripedaLj256ELj4ELj100EEvPKT0_PKjPS1_: ; @_Z6kernelI18scatter_to_stripedaLj256ELj4ELj100EEvPKT0_PKjPS1_
; %bb.0:
	s_load_dwordx4 s[8:11], s[4:5], 0x0
	s_load_dwordx2 s[0:1], s[4:5], 0x10
	s_lshl_b32 s2, s6, 10
	s_mov_b32 s3, 0
	v_lshlrev_b32_e32 v9, 2, v0
	s_waitcnt lgkmcnt(0)
	s_add_u32 s4, s8, s2
	s_addc_u32 s5, s9, 0
	global_load_ubyte v5, v0, s[4:5]
	global_load_ubyte v6, v0, s[4:5] offset:256
	global_load_ubyte v7, v0, s[4:5] offset:512
	;; [unrolled: 1-line block ×3, first 2 shown]
	s_lshl_b64 s[4:5], s[2:3], 2
	s_add_u32 s4, s10, s4
	s_addc_u32 s5, s11, s5
	global_load_dword v1, v9, s[4:5]
	global_load_dword v2, v9, s[4:5] offset:1024
	global_load_dword v3, v9, s[4:5] offset:2048
	global_load_dword v4, v9, s[4:5] offset:3072
	s_movk_i32 s3, 0x64
	s_waitcnt vmcnt(6)
	v_lshlrev_b16_e32 v6, 8, v6
	v_or_b32_e32 v5, v5, v6
	s_waitcnt vmcnt(4)
	v_lshlrev_b16_e32 v8, 8, v8
	v_or_b32_sdwa v6, v7, v8 dst_sel:WORD_1 dst_unused:UNUSED_PAD src0_sel:DWORD src1_sel:DWORD
	v_or_b32_sdwa v9, v5, v6 dst_sel:DWORD dst_unused:UNUSED_PAD src0_sel:WORD_0 src1_sel:DWORD
.LBB159_1:                              ; =>This Inner Loop Header: Depth=1
	v_lshrrev_b32_e32 v5, 8, v9
	s_waitcnt vmcnt(3)
	ds_write_b8 v1, v9
	s_waitcnt vmcnt(2)
	ds_write_b8 v2, v5
	s_waitcnt vmcnt(1)
	ds_write_b8_d16_hi v3, v9
	v_lshrrev_b32_e32 v5, 24, v9
	s_waitcnt vmcnt(0)
	ds_write_b8 v4, v5
	s_waitcnt lgkmcnt(0)
	s_barrier
	ds_read_u8 v5, v0 offset:256
	ds_read_u8 v7, v0
	ds_read_u8 v6, v0 offset:768
	ds_read_u8 v8, v0 offset:512
	s_add_i32 s3, s3, -1
	s_waitcnt lgkmcnt(3)
	v_lshlrev_b16_e32 v9, 8, v5
	s_waitcnt lgkmcnt(2)
	v_or_b32_e32 v9, v7, v9
	s_waitcnt lgkmcnt(1)
	v_lshlrev_b16_e32 v10, 8, v6
	s_waitcnt lgkmcnt(0)
	v_or_b32_sdwa v10, v8, v10 dst_sel:WORD_1 dst_unused:UNUSED_PAD src0_sel:DWORD src1_sel:DWORD
	v_or_b32_sdwa v9, v9, v10 dst_sel:DWORD dst_unused:UNUSED_PAD src0_sel:WORD_0 src1_sel:DWORD
	s_cmp_lg_u32 s3, 0
	s_barrier
	s_cbranch_scc1 .LBB159_1
; %bb.2:
	s_add_u32 s0, s0, s2
	s_addc_u32 s1, s1, 0
	v_mov_b32_e32 v1, s1
	v_add_co_u32_e32 v0, vcc, s0, v0
	v_addc_co_u32_e32 v1, vcc, 0, v1, vcc
	global_store_byte v[0:1], v7, off
	global_store_byte v[0:1], v5, off offset:256
	global_store_byte v[0:1], v8, off offset:512
	;; [unrolled: 1-line block ×3, first 2 shown]
	s_endpgm
	.section	.rodata,"a",@progbits
	.p2align	6, 0x0
	.amdhsa_kernel _Z6kernelI18scatter_to_stripedaLj256ELj4ELj100EEvPKT0_PKjPS1_
		.amdhsa_group_segment_fixed_size 1056
		.amdhsa_private_segment_fixed_size 0
		.amdhsa_kernarg_size 24
		.amdhsa_user_sgpr_count 6
		.amdhsa_user_sgpr_private_segment_buffer 1
		.amdhsa_user_sgpr_dispatch_ptr 0
		.amdhsa_user_sgpr_queue_ptr 0
		.amdhsa_user_sgpr_kernarg_segment_ptr 1
		.amdhsa_user_sgpr_dispatch_id 0
		.amdhsa_user_sgpr_flat_scratch_init 0
		.amdhsa_user_sgpr_kernarg_preload_length 0
		.amdhsa_user_sgpr_kernarg_preload_offset 0
		.amdhsa_user_sgpr_private_segment_size 0
		.amdhsa_uses_dynamic_stack 0
		.amdhsa_system_sgpr_private_segment_wavefront_offset 0
		.amdhsa_system_sgpr_workgroup_id_x 1
		.amdhsa_system_sgpr_workgroup_id_y 0
		.amdhsa_system_sgpr_workgroup_id_z 0
		.amdhsa_system_sgpr_workgroup_info 0
		.amdhsa_system_vgpr_workitem_id 0
		.amdhsa_next_free_vgpr 11
		.amdhsa_next_free_sgpr 12
		.amdhsa_accum_offset 12
		.amdhsa_reserve_vcc 1
		.amdhsa_reserve_flat_scratch 0
		.amdhsa_float_round_mode_32 0
		.amdhsa_float_round_mode_16_64 0
		.amdhsa_float_denorm_mode_32 3
		.amdhsa_float_denorm_mode_16_64 3
		.amdhsa_dx10_clamp 1
		.amdhsa_ieee_mode 1
		.amdhsa_fp16_overflow 0
		.amdhsa_tg_split 0
		.amdhsa_exception_fp_ieee_invalid_op 0
		.amdhsa_exception_fp_denorm_src 0
		.amdhsa_exception_fp_ieee_div_zero 0
		.amdhsa_exception_fp_ieee_overflow 0
		.amdhsa_exception_fp_ieee_underflow 0
		.amdhsa_exception_fp_ieee_inexact 0
		.amdhsa_exception_int_div_zero 0
	.end_amdhsa_kernel
	.section	.text._Z6kernelI18scatter_to_stripedaLj256ELj4ELj100EEvPKT0_PKjPS1_,"axG",@progbits,_Z6kernelI18scatter_to_stripedaLj256ELj4ELj100EEvPKT0_PKjPS1_,comdat
.Lfunc_end159:
	.size	_Z6kernelI18scatter_to_stripedaLj256ELj4ELj100EEvPKT0_PKjPS1_, .Lfunc_end159-_Z6kernelI18scatter_to_stripedaLj256ELj4ELj100EEvPKT0_PKjPS1_
                                        ; -- End function
	.section	.AMDGPU.csdata,"",@progbits
; Kernel info:
; codeLenInByte = 368
; NumSgprs: 16
; NumVgprs: 11
; NumAgprs: 0
; TotalNumVgprs: 11
; ScratchSize: 0
; MemoryBound: 0
; FloatMode: 240
; IeeeMode: 1
; LDSByteSize: 1056 bytes/workgroup (compile time only)
; SGPRBlocks: 1
; VGPRBlocks: 1
; NumSGPRsForWavesPerEU: 16
; NumVGPRsForWavesPerEU: 11
; AccumOffset: 12
; Occupancy: 8
; WaveLimiterHint : 1
; COMPUTE_PGM_RSRC2:SCRATCH_EN: 0
; COMPUTE_PGM_RSRC2:USER_SGPR: 6
; COMPUTE_PGM_RSRC2:TRAP_HANDLER: 0
; COMPUTE_PGM_RSRC2:TGID_X_EN: 1
; COMPUTE_PGM_RSRC2:TGID_Y_EN: 0
; COMPUTE_PGM_RSRC2:TGID_Z_EN: 0
; COMPUTE_PGM_RSRC2:TIDIG_COMP_CNT: 0
; COMPUTE_PGM_RSRC3_GFX90A:ACCUM_OFFSET: 2
; COMPUTE_PGM_RSRC3_GFX90A:TG_SPLIT: 0
	.section	.text._Z6kernelI18scatter_to_stripedaLj256ELj7ELj100EEvPKT0_PKjPS1_,"axG",@progbits,_Z6kernelI18scatter_to_stripedaLj256ELj7ELj100EEvPKT0_PKjPS1_,comdat
	.protected	_Z6kernelI18scatter_to_stripedaLj256ELj7ELj100EEvPKT0_PKjPS1_ ; -- Begin function _Z6kernelI18scatter_to_stripedaLj256ELj7ELj100EEvPKT0_PKjPS1_
	.globl	_Z6kernelI18scatter_to_stripedaLj256ELj7ELj100EEvPKT0_PKjPS1_
	.p2align	8
	.type	_Z6kernelI18scatter_to_stripedaLj256ELj7ELj100EEvPKT0_PKjPS1_,@function
_Z6kernelI18scatter_to_stripedaLj256ELj7ELj100EEvPKT0_PKjPS1_: ; @_Z6kernelI18scatter_to_stripedaLj256ELj7ELj100EEvPKT0_PKjPS1_
; %bb.0:
	s_load_dwordx4 s[8:11], s[4:5], 0x0
	s_load_dwordx2 s[0:1], s[4:5], 0x10
	s_mul_i32 s2, s6, 0x700
	s_mov_b32 s3, 0
	v_lshlrev_b32_e32 v17, 2, v0
	s_waitcnt lgkmcnt(0)
	s_add_u32 s4, s8, s2
	s_addc_u32 s5, s9, 0
	global_load_ubyte v11, v0, s[4:5]
	global_load_ubyte v14, v0, s[4:5] offset:256
	global_load_ubyte v15, v0, s[4:5] offset:512
	;; [unrolled: 1-line block ×6, first 2 shown]
	s_lshl_b64 s[4:5], s[2:3], 2
	s_add_u32 s4, s10, s4
	s_addc_u32 s5, s11, s5
	v_mov_b32_e32 v4, s5
	v_add_co_u32_e32 v5, vcc, s4, v17
	v_addc_co_u32_e32 v4, vcc, 0, v4, vcc
	s_movk_i32 s3, 0x1000
	v_add_co_u32_e32 v12, vcc, s3, v5
	v_addc_co_u32_e32 v13, vcc, 0, v4, vcc
	global_load_dword v4, v17, s[4:5]
	global_load_dword v5, v17, s[4:5] offset:1024
	global_load_dword v6, v17, s[4:5] offset:2048
	;; [unrolled: 1-line block ×3, first 2 shown]
	global_load_dword v8, v[12:13], off
	global_load_dword v9, v[12:13], off offset:1024
	global_load_dword v10, v[12:13], off offset:2048
	s_movk_i32 s3, 0x64
	s_waitcnt vmcnt(12)
	v_lshlrev_b16_e32 v12, 8, v14
	v_or_b32_e32 v11, v11, v12
	s_waitcnt vmcnt(10)
	v_lshlrev_b16_e32 v12, 8, v16
	v_or_b32_sdwa v12, v15, v12 dst_sel:WORD_1 dst_unused:UNUSED_PAD src0_sel:DWORD src1_sel:DWORD
	v_or_b32_sdwa v15, v11, v12 dst_sel:DWORD dst_unused:UNUSED_PAD src0_sel:WORD_0 src1_sel:DWORD
.LBB160_1:                              ; =>This Inner Loop Header: Depth=1
	v_lshrrev_b32_e32 v11, 8, v15
	s_waitcnt vmcnt(6)
	ds_write_b8 v4, v15
	s_waitcnt vmcnt(5)
	ds_write_b8 v5, v11
	s_waitcnt vmcnt(4)
	ds_write_b8_d16_hi v6, v15
	v_lshrrev_b32_e32 v11, 24, v15
	s_waitcnt vmcnt(3)
	ds_write_b8 v7, v11
	s_waitcnt vmcnt(2)
	ds_write_b8 v8, v2
	;; [unrolled: 2-line block ×4, first 2 shown]
	s_waitcnt lgkmcnt(0)
	s_barrier
	ds_read_u8 v11, v0
	ds_read_u8 v12, v0 offset:256
	ds_read_u8 v13, v0 offset:512
	;; [unrolled: 1-line block ×6, first 2 shown]
	s_waitcnt lgkmcnt(5)
	v_lshlrev_b16_e32 v15, 8, v12
	s_waitcnt lgkmcnt(3)
	v_lshlrev_b16_e32 v16, 8, v14
	v_or_b32_e32 v15, v11, v15
	v_or_b32_sdwa v16, v13, v16 dst_sel:WORD_1 dst_unused:UNUSED_PAD src0_sel:DWORD src1_sel:DWORD
	s_add_i32 s3, s3, -1
	s_cmp_lg_u32 s3, 0
	v_or_b32_sdwa v15, v15, v16 dst_sel:DWORD dst_unused:UNUSED_PAD src0_sel:WORD_0 src1_sel:DWORD
	s_waitcnt lgkmcnt(0)
	s_barrier
	s_cbranch_scc1 .LBB160_1
; %bb.2:
	s_add_u32 s0, s0, s2
	s_addc_u32 s1, s1, 0
	v_mov_b32_e32 v5, s1
	v_add_co_u32_e32 v4, vcc, s0, v0
	v_addc_co_u32_e32 v5, vcc, 0, v5, vcc
	global_store_byte v[4:5], v11, off
	global_store_byte v[4:5], v12, off offset:256
	global_store_byte v[4:5], v13, off offset:512
	;; [unrolled: 1-line block ×6, first 2 shown]
	s_endpgm
	.section	.rodata,"a",@progbits
	.p2align	6, 0x0
	.amdhsa_kernel _Z6kernelI18scatter_to_stripedaLj256ELj7ELj100EEvPKT0_PKjPS1_
		.amdhsa_group_segment_fixed_size 1792
		.amdhsa_private_segment_fixed_size 0
		.amdhsa_kernarg_size 24
		.amdhsa_user_sgpr_count 6
		.amdhsa_user_sgpr_private_segment_buffer 1
		.amdhsa_user_sgpr_dispatch_ptr 0
		.amdhsa_user_sgpr_queue_ptr 0
		.amdhsa_user_sgpr_kernarg_segment_ptr 1
		.amdhsa_user_sgpr_dispatch_id 0
		.amdhsa_user_sgpr_flat_scratch_init 0
		.amdhsa_user_sgpr_kernarg_preload_length 0
		.amdhsa_user_sgpr_kernarg_preload_offset 0
		.amdhsa_user_sgpr_private_segment_size 0
		.amdhsa_uses_dynamic_stack 0
		.amdhsa_system_sgpr_private_segment_wavefront_offset 0
		.amdhsa_system_sgpr_workgroup_id_x 1
		.amdhsa_system_sgpr_workgroup_id_y 0
		.amdhsa_system_sgpr_workgroup_id_z 0
		.amdhsa_system_sgpr_workgroup_info 0
		.amdhsa_system_vgpr_workitem_id 0
		.amdhsa_next_free_vgpr 18
		.amdhsa_next_free_sgpr 12
		.amdhsa_accum_offset 20
		.amdhsa_reserve_vcc 1
		.amdhsa_reserve_flat_scratch 0
		.amdhsa_float_round_mode_32 0
		.amdhsa_float_round_mode_16_64 0
		.amdhsa_float_denorm_mode_32 3
		.amdhsa_float_denorm_mode_16_64 3
		.amdhsa_dx10_clamp 1
		.amdhsa_ieee_mode 1
		.amdhsa_fp16_overflow 0
		.amdhsa_tg_split 0
		.amdhsa_exception_fp_ieee_invalid_op 0
		.amdhsa_exception_fp_denorm_src 0
		.amdhsa_exception_fp_ieee_div_zero 0
		.amdhsa_exception_fp_ieee_overflow 0
		.amdhsa_exception_fp_ieee_underflow 0
		.amdhsa_exception_fp_ieee_inexact 0
		.amdhsa_exception_int_div_zero 0
	.end_amdhsa_kernel
	.section	.text._Z6kernelI18scatter_to_stripedaLj256ELj7ELj100EEvPKT0_PKjPS1_,"axG",@progbits,_Z6kernelI18scatter_to_stripedaLj256ELj7ELj100EEvPKT0_PKjPS1_,comdat
.Lfunc_end160:
	.size	_Z6kernelI18scatter_to_stripedaLj256ELj7ELj100EEvPKT0_PKjPS1_, .Lfunc_end160-_Z6kernelI18scatter_to_stripedaLj256ELj7ELj100EEvPKT0_PKjPS1_
                                        ; -- End function
	.section	.AMDGPU.csdata,"",@progbits
; Kernel info:
; codeLenInByte = 524
; NumSgprs: 16
; NumVgprs: 18
; NumAgprs: 0
; TotalNumVgprs: 18
; ScratchSize: 0
; MemoryBound: 0
; FloatMode: 240
; IeeeMode: 1
; LDSByteSize: 1792 bytes/workgroup (compile time only)
; SGPRBlocks: 1
; VGPRBlocks: 2
; NumSGPRsForWavesPerEU: 16
; NumVGPRsForWavesPerEU: 18
; AccumOffset: 20
; Occupancy: 8
; WaveLimiterHint : 1
; COMPUTE_PGM_RSRC2:SCRATCH_EN: 0
; COMPUTE_PGM_RSRC2:USER_SGPR: 6
; COMPUTE_PGM_RSRC2:TRAP_HANDLER: 0
; COMPUTE_PGM_RSRC2:TGID_X_EN: 1
; COMPUTE_PGM_RSRC2:TGID_Y_EN: 0
; COMPUTE_PGM_RSRC2:TGID_Z_EN: 0
; COMPUTE_PGM_RSRC2:TIDIG_COMP_CNT: 0
; COMPUTE_PGM_RSRC3_GFX90A:ACCUM_OFFSET: 4
; COMPUTE_PGM_RSRC3_GFX90A:TG_SPLIT: 0
	.section	.text._Z6kernelI18scatter_to_stripedaLj256ELj8ELj100EEvPKT0_PKjPS1_,"axG",@progbits,_Z6kernelI18scatter_to_stripedaLj256ELj8ELj100EEvPKT0_PKjPS1_,comdat
	.protected	_Z6kernelI18scatter_to_stripedaLj256ELj8ELj100EEvPKT0_PKjPS1_ ; -- Begin function _Z6kernelI18scatter_to_stripedaLj256ELj8ELj100EEvPKT0_PKjPS1_
	.globl	_Z6kernelI18scatter_to_stripedaLj256ELj8ELj100EEvPKT0_PKjPS1_
	.p2align	8
	.type	_Z6kernelI18scatter_to_stripedaLj256ELj8ELj100EEvPKT0_PKjPS1_,@function
_Z6kernelI18scatter_to_stripedaLj256ELj8ELj100EEvPKT0_PKjPS1_: ; @_Z6kernelI18scatter_to_stripedaLj256ELj8ELj100EEvPKT0_PKjPS1_
; %bb.0:
	s_load_dwordx4 s[8:11], s[4:5], 0x0
	s_load_dwordx2 s[0:1], s[4:5], 0x10
	s_lshl_b32 s2, s6, 11
	s_mov_b32 s3, 0
	v_lshlrev_b32_e32 v19, 2, v0
	s_waitcnt lgkmcnt(0)
	s_add_u32 s4, s8, s2
	s_addc_u32 s5, s9, 0
	global_load_ubyte v9, v0, s[4:5]
	global_load_ubyte v12, v0, s[4:5] offset:256
	global_load_ubyte v13, v0, s[4:5] offset:512
	;; [unrolled: 1-line block ×7, first 2 shown]
	s_lshl_b64 s[4:5], s[2:3], 2
	s_add_u32 s4, s10, s4
	s_addc_u32 s5, s11, s5
	v_mov_b32_e32 v1, s5
	v_add_co_u32_e32 v2, vcc, s4, v19
	v_addc_co_u32_e32 v1, vcc, 0, v1, vcc
	s_movk_i32 s3, 0x1000
	v_add_co_u32_e32 v10, vcc, s3, v2
	v_addc_co_u32_e32 v11, vcc, 0, v1, vcc
	global_load_dword v1, v19, s[4:5]
	global_load_dword v2, v19, s[4:5] offset:1024
	global_load_dword v3, v19, s[4:5] offset:2048
	;; [unrolled: 1-line block ×3, first 2 shown]
	global_load_dword v5, v[10:11], off
	global_load_dword v6, v[10:11], off offset:1024
	global_load_dword v7, v[10:11], off offset:2048
	;; [unrolled: 1-line block ×3, first 2 shown]
	s_movk_i32 s3, 0x64
	s_waitcnt vmcnt(14)
	v_lshlrev_b16_e32 v10, 8, v12
	v_or_b32_e32 v9, v9, v10
	s_waitcnt vmcnt(12)
	v_lshlrev_b16_e32 v11, 8, v14
	v_or_b32_sdwa v10, v13, v11 dst_sel:WORD_1 dst_unused:UNUSED_PAD src0_sel:DWORD src1_sel:DWORD
	s_waitcnt vmcnt(10)
	v_lshlrev_b16_e32 v12, 8, v16
	v_or_b32_e32 v11, v15, v12
	s_waitcnt vmcnt(8)
	v_lshlrev_b16_e32 v14, 8, v17
	v_or_b32_sdwa v17, v9, v10 dst_sel:DWORD dst_unused:UNUSED_PAD src0_sel:WORD_0 src1_sel:DWORD
	v_or_b32_sdwa v9, v18, v14 dst_sel:WORD_1 dst_unused:UNUSED_PAD src0_sel:DWORD src1_sel:DWORD
	v_or_b32_sdwa v18, v11, v9 dst_sel:DWORD dst_unused:UNUSED_PAD src0_sel:WORD_0 src1_sel:DWORD
.LBB161_1:                              ; =>This Inner Loop Header: Depth=1
	v_lshrrev_b32_e32 v9, 8, v17
	s_waitcnt vmcnt(7)
	ds_write_b8 v1, v17
	s_waitcnt vmcnt(6)
	ds_write_b8 v2, v9
	s_waitcnt vmcnt(5)
	ds_write_b8_d16_hi v3, v17
	v_lshrrev_b32_e32 v9, 24, v17
	s_waitcnt vmcnt(4)
	ds_write_b8 v4, v9
	s_waitcnt vmcnt(3)
	ds_write_b8 v5, v18
	v_lshrrev_b32_e32 v9, 8, v18
	s_waitcnt vmcnt(2)
	ds_write_b8 v6, v9
	s_waitcnt vmcnt(1)
	ds_write_b8_d16_hi v7, v18
	v_lshrrev_b32_e32 v9, 24, v18
	s_waitcnt vmcnt(0)
	ds_write_b8 v8, v9
	s_waitcnt lgkmcnt(0)
	s_barrier
	ds_read_u8 v9, v0
	ds_read_u8 v10, v0 offset:256
	ds_read_u8 v11, v0 offset:512
	;; [unrolled: 1-line block ×7, first 2 shown]
	s_waitcnt lgkmcnt(6)
	v_lshlrev_b16_e32 v17, 8, v10
	s_waitcnt lgkmcnt(4)
	v_lshlrev_b16_e32 v18, 8, v12
	v_or_b32_e32 v17, v9, v17
	v_or_b32_sdwa v18, v11, v18 dst_sel:WORD_1 dst_unused:UNUSED_PAD src0_sel:DWORD src1_sel:DWORD
	v_or_b32_sdwa v17, v17, v18 dst_sel:DWORD dst_unused:UNUSED_PAD src0_sel:WORD_0 src1_sel:DWORD
	s_waitcnt lgkmcnt(2)
	v_lshlrev_b16_e32 v18, 8, v14
	s_waitcnt lgkmcnt(0)
	v_lshlrev_b16_e32 v19, 8, v16
	v_or_b32_e32 v18, v13, v18
	v_or_b32_sdwa v19, v15, v19 dst_sel:WORD_1 dst_unused:UNUSED_PAD src0_sel:DWORD src1_sel:DWORD
	s_add_i32 s3, s3, -1
	s_cmp_lg_u32 s3, 0
	v_or_b32_sdwa v18, v18, v19 dst_sel:DWORD dst_unused:UNUSED_PAD src0_sel:WORD_0 src1_sel:DWORD
	s_barrier
	s_cbranch_scc1 .LBB161_1
; %bb.2:
	s_add_u32 s0, s0, s2
	s_addc_u32 s1, s1, 0
	v_mov_b32_e32 v1, s1
	v_add_co_u32_e32 v0, vcc, s0, v0
	v_addc_co_u32_e32 v1, vcc, 0, v1, vcc
	global_store_byte v[0:1], v9, off
	global_store_byte v[0:1], v10, off offset:256
	global_store_byte v[0:1], v11, off offset:512
	;; [unrolled: 1-line block ×7, first 2 shown]
	s_endpgm
	.section	.rodata,"a",@progbits
	.p2align	6, 0x0
	.amdhsa_kernel _Z6kernelI18scatter_to_stripedaLj256ELj8ELj100EEvPKT0_PKjPS1_
		.amdhsa_group_segment_fixed_size 2112
		.amdhsa_private_segment_fixed_size 0
		.amdhsa_kernarg_size 24
		.amdhsa_user_sgpr_count 6
		.amdhsa_user_sgpr_private_segment_buffer 1
		.amdhsa_user_sgpr_dispatch_ptr 0
		.amdhsa_user_sgpr_queue_ptr 0
		.amdhsa_user_sgpr_kernarg_segment_ptr 1
		.amdhsa_user_sgpr_dispatch_id 0
		.amdhsa_user_sgpr_flat_scratch_init 0
		.amdhsa_user_sgpr_kernarg_preload_length 0
		.amdhsa_user_sgpr_kernarg_preload_offset 0
		.amdhsa_user_sgpr_private_segment_size 0
		.amdhsa_uses_dynamic_stack 0
		.amdhsa_system_sgpr_private_segment_wavefront_offset 0
		.amdhsa_system_sgpr_workgroup_id_x 1
		.amdhsa_system_sgpr_workgroup_id_y 0
		.amdhsa_system_sgpr_workgroup_id_z 0
		.amdhsa_system_sgpr_workgroup_info 0
		.amdhsa_system_vgpr_workitem_id 0
		.amdhsa_next_free_vgpr 20
		.amdhsa_next_free_sgpr 12
		.amdhsa_accum_offset 20
		.amdhsa_reserve_vcc 1
		.amdhsa_reserve_flat_scratch 0
		.amdhsa_float_round_mode_32 0
		.amdhsa_float_round_mode_16_64 0
		.amdhsa_float_denorm_mode_32 3
		.amdhsa_float_denorm_mode_16_64 3
		.amdhsa_dx10_clamp 1
		.amdhsa_ieee_mode 1
		.amdhsa_fp16_overflow 0
		.amdhsa_tg_split 0
		.amdhsa_exception_fp_ieee_invalid_op 0
		.amdhsa_exception_fp_denorm_src 0
		.amdhsa_exception_fp_ieee_div_zero 0
		.amdhsa_exception_fp_ieee_overflow 0
		.amdhsa_exception_fp_ieee_underflow 0
		.amdhsa_exception_fp_ieee_inexact 0
		.amdhsa_exception_int_div_zero 0
	.end_amdhsa_kernel
	.section	.text._Z6kernelI18scatter_to_stripedaLj256ELj8ELj100EEvPKT0_PKjPS1_,"axG",@progbits,_Z6kernelI18scatter_to_stripedaLj256ELj8ELj100EEvPKT0_PKjPS1_,comdat
.Lfunc_end161:
	.size	_Z6kernelI18scatter_to_stripedaLj256ELj8ELj100EEvPKT0_PKjPS1_, .Lfunc_end161-_Z6kernelI18scatter_to_stripedaLj256ELj8ELj100EEvPKT0_PKjPS1_
                                        ; -- End function
	.section	.AMDGPU.csdata,"",@progbits
; Kernel info:
; codeLenInByte = 640
; NumSgprs: 16
; NumVgprs: 20
; NumAgprs: 0
; TotalNumVgprs: 20
; ScratchSize: 0
; MemoryBound: 0
; FloatMode: 240
; IeeeMode: 1
; LDSByteSize: 2112 bytes/workgroup (compile time only)
; SGPRBlocks: 1
; VGPRBlocks: 2
; NumSGPRsForWavesPerEU: 16
; NumVGPRsForWavesPerEU: 20
; AccumOffset: 20
; Occupancy: 8
; WaveLimiterHint : 1
; COMPUTE_PGM_RSRC2:SCRATCH_EN: 0
; COMPUTE_PGM_RSRC2:USER_SGPR: 6
; COMPUTE_PGM_RSRC2:TRAP_HANDLER: 0
; COMPUTE_PGM_RSRC2:TGID_X_EN: 1
; COMPUTE_PGM_RSRC2:TGID_Y_EN: 0
; COMPUTE_PGM_RSRC2:TGID_Z_EN: 0
; COMPUTE_PGM_RSRC2:TIDIG_COMP_CNT: 0
; COMPUTE_PGM_RSRC3_GFX90A:ACCUM_OFFSET: 4
; COMPUTE_PGM_RSRC3_GFX90A:TG_SPLIT: 0
	.section	.text._Z6kernelI18scatter_to_stripedxLj256ELj1ELj100EEvPKT0_PKjPS1_,"axG",@progbits,_Z6kernelI18scatter_to_stripedxLj256ELj1ELj100EEvPKT0_PKjPS1_,comdat
	.protected	_Z6kernelI18scatter_to_stripedxLj256ELj1ELj100EEvPKT0_PKjPS1_ ; -- Begin function _Z6kernelI18scatter_to_stripedxLj256ELj1ELj100EEvPKT0_PKjPS1_
	.globl	_Z6kernelI18scatter_to_stripedxLj256ELj1ELj100EEvPKT0_PKjPS1_
	.p2align	8
	.type	_Z6kernelI18scatter_to_stripedxLj256ELj1ELj100EEvPKT0_PKjPS1_,@function
_Z6kernelI18scatter_to_stripedxLj256ELj1ELj100EEvPKT0_PKjPS1_: ; @_Z6kernelI18scatter_to_stripedxLj256ELj1ELj100EEvPKT0_PKjPS1_
; %bb.0:
	s_load_dwordx4 s[8:11], s[4:5], 0x0
	s_load_dwordx2 s[0:1], s[4:5], 0x10
	s_lshl_b32 s4, s6, 8
	s_mov_b32 s5, 0
	s_lshl_b64 s[2:3], s[4:5], 3
	s_waitcnt lgkmcnt(0)
	s_add_u32 s6, s8, s2
	s_addc_u32 s7, s9, s3
	s_lshl_b64 s[4:5], s[4:5], 2
	s_add_u32 s4, s10, s4
	s_addc_u32 s5, s11, s5
	v_lshlrev_b32_e32 v1, 2, v0
	global_load_dword v4, v1, s[4:5]
	v_lshlrev_b32_e32 v1, 3, v0
	global_load_dwordx2 v[2:3], v1, s[6:7]
	s_movk_i32 s4, 0x64
	s_waitcnt vmcnt(1)
	v_lshlrev_b32_e32 v4, 3, v4
.LBB162_1:                              ; =>This Inner Loop Header: Depth=1
	s_waitcnt vmcnt(0)
	ds_write_b64 v4, v[2:3]
	s_waitcnt lgkmcnt(0)
	s_barrier
	ds_read_b64 v[2:3], v1
	s_add_i32 s4, s4, -1
	s_cmp_lg_u32 s4, 0
	s_waitcnt lgkmcnt(0)
	s_barrier
	s_cbranch_scc1 .LBB162_1
; %bb.2:
	s_add_u32 s0, s0, s2
	s_addc_u32 s1, s1, s3
	v_lshlrev_b32_e32 v0, 3, v0
	global_store_dwordx2 v0, v[2:3], s[0:1]
	s_endpgm
	.section	.rodata,"a",@progbits
	.p2align	6, 0x0
	.amdhsa_kernel _Z6kernelI18scatter_to_stripedxLj256ELj1ELj100EEvPKT0_PKjPS1_
		.amdhsa_group_segment_fixed_size 2048
		.amdhsa_private_segment_fixed_size 0
		.amdhsa_kernarg_size 24
		.amdhsa_user_sgpr_count 6
		.amdhsa_user_sgpr_private_segment_buffer 1
		.amdhsa_user_sgpr_dispatch_ptr 0
		.amdhsa_user_sgpr_queue_ptr 0
		.amdhsa_user_sgpr_kernarg_segment_ptr 1
		.amdhsa_user_sgpr_dispatch_id 0
		.amdhsa_user_sgpr_flat_scratch_init 0
		.amdhsa_user_sgpr_kernarg_preload_length 0
		.amdhsa_user_sgpr_kernarg_preload_offset 0
		.amdhsa_user_sgpr_private_segment_size 0
		.amdhsa_uses_dynamic_stack 0
		.amdhsa_system_sgpr_private_segment_wavefront_offset 0
		.amdhsa_system_sgpr_workgroup_id_x 1
		.amdhsa_system_sgpr_workgroup_id_y 0
		.amdhsa_system_sgpr_workgroup_id_z 0
		.amdhsa_system_sgpr_workgroup_info 0
		.amdhsa_system_vgpr_workitem_id 0
		.amdhsa_next_free_vgpr 5
		.amdhsa_next_free_sgpr 12
		.amdhsa_accum_offset 8
		.amdhsa_reserve_vcc 0
		.amdhsa_reserve_flat_scratch 0
		.amdhsa_float_round_mode_32 0
		.amdhsa_float_round_mode_16_64 0
		.amdhsa_float_denorm_mode_32 3
		.amdhsa_float_denorm_mode_16_64 3
		.amdhsa_dx10_clamp 1
		.amdhsa_ieee_mode 1
		.amdhsa_fp16_overflow 0
		.amdhsa_tg_split 0
		.amdhsa_exception_fp_ieee_invalid_op 0
		.amdhsa_exception_fp_denorm_src 0
		.amdhsa_exception_fp_ieee_div_zero 0
		.amdhsa_exception_fp_ieee_overflow 0
		.amdhsa_exception_fp_ieee_underflow 0
		.amdhsa_exception_fp_ieee_inexact 0
		.amdhsa_exception_int_div_zero 0
	.end_amdhsa_kernel
	.section	.text._Z6kernelI18scatter_to_stripedxLj256ELj1ELj100EEvPKT0_PKjPS1_,"axG",@progbits,_Z6kernelI18scatter_to_stripedxLj256ELj1ELj100EEvPKT0_PKjPS1_,comdat
.Lfunc_end162:
	.size	_Z6kernelI18scatter_to_stripedxLj256ELj1ELj100EEvPKT0_PKjPS1_, .Lfunc_end162-_Z6kernelI18scatter_to_stripedxLj256ELj1ELj100EEvPKT0_PKjPS1_
                                        ; -- End function
	.section	.AMDGPU.csdata,"",@progbits
; Kernel info:
; codeLenInByte = 160
; NumSgprs: 16
; NumVgprs: 5
; NumAgprs: 0
; TotalNumVgprs: 5
; ScratchSize: 0
; MemoryBound: 0
; FloatMode: 240
; IeeeMode: 1
; LDSByteSize: 2048 bytes/workgroup (compile time only)
; SGPRBlocks: 1
; VGPRBlocks: 0
; NumSGPRsForWavesPerEU: 16
; NumVGPRsForWavesPerEU: 5
; AccumOffset: 8
; Occupancy: 8
; WaveLimiterHint : 0
; COMPUTE_PGM_RSRC2:SCRATCH_EN: 0
; COMPUTE_PGM_RSRC2:USER_SGPR: 6
; COMPUTE_PGM_RSRC2:TRAP_HANDLER: 0
; COMPUTE_PGM_RSRC2:TGID_X_EN: 1
; COMPUTE_PGM_RSRC2:TGID_Y_EN: 0
; COMPUTE_PGM_RSRC2:TGID_Z_EN: 0
; COMPUTE_PGM_RSRC2:TIDIG_COMP_CNT: 0
; COMPUTE_PGM_RSRC3_GFX90A:ACCUM_OFFSET: 1
; COMPUTE_PGM_RSRC3_GFX90A:TG_SPLIT: 0
	.section	.text._Z6kernelI18scatter_to_stripedxLj256ELj2ELj100EEvPKT0_PKjPS1_,"axG",@progbits,_Z6kernelI18scatter_to_stripedxLj256ELj2ELj100EEvPKT0_PKjPS1_,comdat
	.protected	_Z6kernelI18scatter_to_stripedxLj256ELj2ELj100EEvPKT0_PKjPS1_ ; -- Begin function _Z6kernelI18scatter_to_stripedxLj256ELj2ELj100EEvPKT0_PKjPS1_
	.globl	_Z6kernelI18scatter_to_stripedxLj256ELj2ELj100EEvPKT0_PKjPS1_
	.p2align	8
	.type	_Z6kernelI18scatter_to_stripedxLj256ELj2ELj100EEvPKT0_PKjPS1_,@function
_Z6kernelI18scatter_to_stripedxLj256ELj2ELj100EEvPKT0_PKjPS1_: ; @_Z6kernelI18scatter_to_stripedxLj256ELj2ELj100EEvPKT0_PKjPS1_
; %bb.0:
	s_load_dwordx4 s[8:11], s[4:5], 0x0
	s_load_dwordx2 s[0:1], s[4:5], 0x10
	s_lshl_b32 s4, s6, 9
	s_mov_b32 s5, 0
	s_lshl_b64 s[2:3], s[4:5], 3
	s_waitcnt lgkmcnt(0)
	s_add_u32 s6, s8, s2
	s_addc_u32 s7, s9, s3
	s_lshl_b64 s[4:5], s[4:5], 2
	s_add_u32 s4, s10, s4
	s_addc_u32 s5, s11, s5
	v_lshlrev_b32_e32 v6, 2, v0
	v_lshlrev_b32_e32 v1, 3, v0
	global_load_dword v7, v6, s[4:5]
	global_load_dword v8, v6, s[4:5] offset:1024
	global_load_dwordx2 v[2:3], v1, s[6:7]
	global_load_dwordx2 v[4:5], v1, s[6:7] offset:2048
	s_movk_i32 s4, 0x64
	s_waitcnt vmcnt(3)
	v_lshlrev_b32_e32 v6, 3, v7
	s_waitcnt vmcnt(2)
	v_lshlrev_b32_e32 v7, 3, v8
.LBB163_1:                              ; =>This Inner Loop Header: Depth=1
	s_waitcnt vmcnt(1)
	ds_write_b64 v6, v[2:3]
	s_waitcnt vmcnt(0)
	ds_write_b64 v7, v[4:5]
	s_waitcnt lgkmcnt(0)
	s_barrier
	ds_read2st64_b64 v[2:5], v1 offset1:4
	s_add_i32 s4, s4, -1
	s_cmp_lg_u32 s4, 0
	s_waitcnt lgkmcnt(0)
	s_barrier
	s_cbranch_scc1 .LBB163_1
; %bb.2:
	s_add_u32 s0, s0, s2
	s_addc_u32 s1, s1, s3
	v_lshlrev_b32_e32 v0, 3, v0
	global_store_dwordx2 v0, v[2:3], s[0:1]
	global_store_dwordx2 v0, v[4:5], s[0:1] offset:2048
	s_endpgm
	.section	.rodata,"a",@progbits
	.p2align	6, 0x0
	.amdhsa_kernel _Z6kernelI18scatter_to_stripedxLj256ELj2ELj100EEvPKT0_PKjPS1_
		.amdhsa_group_segment_fixed_size 4224
		.amdhsa_private_segment_fixed_size 0
		.amdhsa_kernarg_size 24
		.amdhsa_user_sgpr_count 6
		.amdhsa_user_sgpr_private_segment_buffer 1
		.amdhsa_user_sgpr_dispatch_ptr 0
		.amdhsa_user_sgpr_queue_ptr 0
		.amdhsa_user_sgpr_kernarg_segment_ptr 1
		.amdhsa_user_sgpr_dispatch_id 0
		.amdhsa_user_sgpr_flat_scratch_init 0
		.amdhsa_user_sgpr_kernarg_preload_length 0
		.amdhsa_user_sgpr_kernarg_preload_offset 0
		.amdhsa_user_sgpr_private_segment_size 0
		.amdhsa_uses_dynamic_stack 0
		.amdhsa_system_sgpr_private_segment_wavefront_offset 0
		.amdhsa_system_sgpr_workgroup_id_x 1
		.amdhsa_system_sgpr_workgroup_id_y 0
		.amdhsa_system_sgpr_workgroup_id_z 0
		.amdhsa_system_sgpr_workgroup_info 0
		.amdhsa_system_vgpr_workitem_id 0
		.amdhsa_next_free_vgpr 9
		.amdhsa_next_free_sgpr 12
		.amdhsa_accum_offset 12
		.amdhsa_reserve_vcc 0
		.amdhsa_reserve_flat_scratch 0
		.amdhsa_float_round_mode_32 0
		.amdhsa_float_round_mode_16_64 0
		.amdhsa_float_denorm_mode_32 3
		.amdhsa_float_denorm_mode_16_64 3
		.amdhsa_dx10_clamp 1
		.amdhsa_ieee_mode 1
		.amdhsa_fp16_overflow 0
		.amdhsa_tg_split 0
		.amdhsa_exception_fp_ieee_invalid_op 0
		.amdhsa_exception_fp_denorm_src 0
		.amdhsa_exception_fp_ieee_div_zero 0
		.amdhsa_exception_fp_ieee_overflow 0
		.amdhsa_exception_fp_ieee_underflow 0
		.amdhsa_exception_fp_ieee_inexact 0
		.amdhsa_exception_int_div_zero 0
	.end_amdhsa_kernel
	.section	.text._Z6kernelI18scatter_to_stripedxLj256ELj2ELj100EEvPKT0_PKjPS1_,"axG",@progbits,_Z6kernelI18scatter_to_stripedxLj256ELj2ELj100EEvPKT0_PKjPS1_,comdat
.Lfunc_end163:
	.size	_Z6kernelI18scatter_to_stripedxLj256ELj2ELj100EEvPKT0_PKjPS1_, .Lfunc_end163-_Z6kernelI18scatter_to_stripedxLj256ELj2ELj100EEvPKT0_PKjPS1_
                                        ; -- End function
	.section	.AMDGPU.csdata,"",@progbits
; Kernel info:
; codeLenInByte = 204
; NumSgprs: 16
; NumVgprs: 9
; NumAgprs: 0
; TotalNumVgprs: 9
; ScratchSize: 0
; MemoryBound: 0
; FloatMode: 240
; IeeeMode: 1
; LDSByteSize: 4224 bytes/workgroup (compile time only)
; SGPRBlocks: 1
; VGPRBlocks: 1
; NumSGPRsForWavesPerEU: 16
; NumVGPRsForWavesPerEU: 9
; AccumOffset: 12
; Occupancy: 8
; WaveLimiterHint : 1
; COMPUTE_PGM_RSRC2:SCRATCH_EN: 0
; COMPUTE_PGM_RSRC2:USER_SGPR: 6
; COMPUTE_PGM_RSRC2:TRAP_HANDLER: 0
; COMPUTE_PGM_RSRC2:TGID_X_EN: 1
; COMPUTE_PGM_RSRC2:TGID_Y_EN: 0
; COMPUTE_PGM_RSRC2:TGID_Z_EN: 0
; COMPUTE_PGM_RSRC2:TIDIG_COMP_CNT: 0
; COMPUTE_PGM_RSRC3_GFX90A:ACCUM_OFFSET: 2
; COMPUTE_PGM_RSRC3_GFX90A:TG_SPLIT: 0
	.section	.text._Z6kernelI18scatter_to_stripedxLj256ELj3ELj100EEvPKT0_PKjPS1_,"axG",@progbits,_Z6kernelI18scatter_to_stripedxLj256ELj3ELj100EEvPKT0_PKjPS1_,comdat
	.protected	_Z6kernelI18scatter_to_stripedxLj256ELj3ELj100EEvPKT0_PKjPS1_ ; -- Begin function _Z6kernelI18scatter_to_stripedxLj256ELj3ELj100EEvPKT0_PKjPS1_
	.globl	_Z6kernelI18scatter_to_stripedxLj256ELj3ELj100EEvPKT0_PKjPS1_
	.p2align	8
	.type	_Z6kernelI18scatter_to_stripedxLj256ELj3ELj100EEvPKT0_PKjPS1_,@function
_Z6kernelI18scatter_to_stripedxLj256ELj3ELj100EEvPKT0_PKjPS1_: ; @_Z6kernelI18scatter_to_stripedxLj256ELj3ELj100EEvPKT0_PKjPS1_
; %bb.0:
	s_load_dwordx4 s[8:11], s[4:5], 0x0
	s_load_dwordx2 s[0:1], s[4:5], 0x10
	s_mul_i32 s4, s6, 0x300
	s_mov_b32 s5, 0
	s_lshl_b64 s[2:3], s[4:5], 3
	s_waitcnt lgkmcnt(0)
	s_add_u32 s6, s8, s2
	s_addc_u32 s7, s9, s3
	v_lshlrev_b32_e32 v1, 3, v0
	v_mov_b32_e32 v2, s7
	v_add_co_u32_e32 v6, vcc, s6, v1
	s_lshl_b64 s[4:5], s[4:5], 2
	v_addc_co_u32_e32 v7, vcc, 0, v2, vcc
	global_load_dwordx2 v[2:3], v1, s[6:7]
	global_load_dwordx2 v[4:5], v1, s[6:7] offset:2048
	s_movk_i32 s6, 0x1000
	s_add_u32 s4, s10, s4
	v_add_co_u32_e32 v6, vcc, s6, v6
	s_addc_u32 s5, s11, s5
	v_lshlrev_b32_e32 v8, 2, v0
	global_load_dword v9, v8, s[4:5]
	global_load_dword v10, v8, s[4:5] offset:1024
	global_load_dword v11, v8, s[4:5] offset:2048
	v_addc_co_u32_e32 v7, vcc, 0, v7, vcc
	global_load_dwordx2 v[6:7], v[6:7], off
	s_movk_i32 s4, 0x64
	s_waitcnt vmcnt(3)
	v_lshlrev_b32_e32 v8, 3, v9
	s_waitcnt vmcnt(2)
	v_lshlrev_b32_e32 v9, 3, v10
	;; [unrolled: 2-line block ×3, first 2 shown]
.LBB164_1:                              ; =>This Inner Loop Header: Depth=1
	ds_write_b64 v8, v[2:3]
	ds_write_b64 v9, v[4:5]
	s_waitcnt vmcnt(0)
	ds_write_b64 v10, v[6:7]
	s_waitcnt lgkmcnt(0)
	s_barrier
	ds_read2st64_b64 v[2:5], v1 offset1:4
	ds_read_b64 v[6:7], v1 offset:4096
	s_add_i32 s4, s4, -1
	s_cmp_lg_u32 s4, 0
	s_waitcnt lgkmcnt(0)
	s_barrier
	s_cbranch_scc1 .LBB164_1
; %bb.2:
	s_add_u32 s0, s0, s2
	s_addc_u32 s1, s1, s3
	v_lshlrev_b32_e32 v0, 3, v0
	v_mov_b32_e32 v1, s1
	v_add_co_u32_e32 v8, vcc, s0, v0
	v_addc_co_u32_e32 v1, vcc, 0, v1, vcc
	global_store_dwordx2 v0, v[2:3], s[0:1]
	global_store_dwordx2 v0, v[4:5], s[0:1] offset:2048
	v_add_co_u32_e32 v0, vcc, 0x1000, v8
	v_addc_co_u32_e32 v1, vcc, 0, v1, vcc
	global_store_dwordx2 v[0:1], v[6:7], off
	s_endpgm
	.section	.rodata,"a",@progbits
	.p2align	6, 0x0
	.amdhsa_kernel _Z6kernelI18scatter_to_stripedxLj256ELj3ELj100EEvPKT0_PKjPS1_
		.amdhsa_group_segment_fixed_size 6144
		.amdhsa_private_segment_fixed_size 0
		.amdhsa_kernarg_size 24
		.amdhsa_user_sgpr_count 6
		.amdhsa_user_sgpr_private_segment_buffer 1
		.amdhsa_user_sgpr_dispatch_ptr 0
		.amdhsa_user_sgpr_queue_ptr 0
		.amdhsa_user_sgpr_kernarg_segment_ptr 1
		.amdhsa_user_sgpr_dispatch_id 0
		.amdhsa_user_sgpr_flat_scratch_init 0
		.amdhsa_user_sgpr_kernarg_preload_length 0
		.amdhsa_user_sgpr_kernarg_preload_offset 0
		.amdhsa_user_sgpr_private_segment_size 0
		.amdhsa_uses_dynamic_stack 0
		.amdhsa_system_sgpr_private_segment_wavefront_offset 0
		.amdhsa_system_sgpr_workgroup_id_x 1
		.amdhsa_system_sgpr_workgroup_id_y 0
		.amdhsa_system_sgpr_workgroup_id_z 0
		.amdhsa_system_sgpr_workgroup_info 0
		.amdhsa_system_vgpr_workitem_id 0
		.amdhsa_next_free_vgpr 12
		.amdhsa_next_free_sgpr 12
		.amdhsa_accum_offset 12
		.amdhsa_reserve_vcc 1
		.amdhsa_reserve_flat_scratch 0
		.amdhsa_float_round_mode_32 0
		.amdhsa_float_round_mode_16_64 0
		.amdhsa_float_denorm_mode_32 3
		.amdhsa_float_denorm_mode_16_64 3
		.amdhsa_dx10_clamp 1
		.amdhsa_ieee_mode 1
		.amdhsa_fp16_overflow 0
		.amdhsa_tg_split 0
		.amdhsa_exception_fp_ieee_invalid_op 0
		.amdhsa_exception_fp_denorm_src 0
		.amdhsa_exception_fp_ieee_div_zero 0
		.amdhsa_exception_fp_ieee_overflow 0
		.amdhsa_exception_fp_ieee_underflow 0
		.amdhsa_exception_fp_ieee_inexact 0
		.amdhsa_exception_int_div_zero 0
	.end_amdhsa_kernel
	.section	.text._Z6kernelI18scatter_to_stripedxLj256ELj3ELj100EEvPKT0_PKjPS1_,"axG",@progbits,_Z6kernelI18scatter_to_stripedxLj256ELj3ELj100EEvPKT0_PKjPS1_,comdat
.Lfunc_end164:
	.size	_Z6kernelI18scatter_to_stripedxLj256ELj3ELj100EEvPKT0_PKjPS1_, .Lfunc_end164-_Z6kernelI18scatter_to_stripedxLj256ELj3ELj100EEvPKT0_PKjPS1_
                                        ; -- End function
	.section	.AMDGPU.csdata,"",@progbits
; Kernel info:
; codeLenInByte = 300
; NumSgprs: 16
; NumVgprs: 12
; NumAgprs: 0
; TotalNumVgprs: 12
; ScratchSize: 0
; MemoryBound: 0
; FloatMode: 240
; IeeeMode: 1
; LDSByteSize: 6144 bytes/workgroup (compile time only)
; SGPRBlocks: 1
; VGPRBlocks: 1
; NumSGPRsForWavesPerEU: 16
; NumVGPRsForWavesPerEU: 12
; AccumOffset: 12
; Occupancy: 8
; WaveLimiterHint : 1
; COMPUTE_PGM_RSRC2:SCRATCH_EN: 0
; COMPUTE_PGM_RSRC2:USER_SGPR: 6
; COMPUTE_PGM_RSRC2:TRAP_HANDLER: 0
; COMPUTE_PGM_RSRC2:TGID_X_EN: 1
; COMPUTE_PGM_RSRC2:TGID_Y_EN: 0
; COMPUTE_PGM_RSRC2:TGID_Z_EN: 0
; COMPUTE_PGM_RSRC2:TIDIG_COMP_CNT: 0
; COMPUTE_PGM_RSRC3_GFX90A:ACCUM_OFFSET: 2
; COMPUTE_PGM_RSRC3_GFX90A:TG_SPLIT: 0
	.section	.text._Z6kernelI18scatter_to_stripedxLj256ELj4ELj100EEvPKT0_PKjPS1_,"axG",@progbits,_Z6kernelI18scatter_to_stripedxLj256ELj4ELj100EEvPKT0_PKjPS1_,comdat
	.protected	_Z6kernelI18scatter_to_stripedxLj256ELj4ELj100EEvPKT0_PKjPS1_ ; -- Begin function _Z6kernelI18scatter_to_stripedxLj256ELj4ELj100EEvPKT0_PKjPS1_
	.globl	_Z6kernelI18scatter_to_stripedxLj256ELj4ELj100EEvPKT0_PKjPS1_
	.p2align	8
	.type	_Z6kernelI18scatter_to_stripedxLj256ELj4ELj100EEvPKT0_PKjPS1_,@function
_Z6kernelI18scatter_to_stripedxLj256ELj4ELj100EEvPKT0_PKjPS1_: ; @_Z6kernelI18scatter_to_stripedxLj256ELj4ELj100EEvPKT0_PKjPS1_
; %bb.0:
	s_load_dwordx4 s[8:11], s[4:5], 0x0
	s_load_dwordx2 s[0:1], s[4:5], 0x10
	s_lshl_b32 s4, s6, 10
	s_mov_b32 s5, 0
	s_lshl_b64 s[2:3], s[4:5], 3
	s_waitcnt lgkmcnt(0)
	s_add_u32 s6, s8, s2
	s_addc_u32 s7, s9, s3
	v_lshlrev_b32_e32 v1, 3, v0
	v_mov_b32_e32 v2, s7
	v_add_co_u32_e32 v6, vcc, s6, v1
	s_lshl_b64 s[4:5], s[4:5], 2
	v_addc_co_u32_e32 v7, vcc, 0, v2, vcc
	global_load_dwordx2 v[2:3], v1, s[6:7]
	global_load_dwordx2 v[4:5], v1, s[6:7] offset:2048
	s_movk_i32 s6, 0x1000
	s_add_u32 s4, s10, s4
	v_add_co_u32_e32 v10, vcc, s6, v6
	s_addc_u32 s5, s11, s5
	v_lshlrev_b32_e32 v12, 2, v0
	v_addc_co_u32_e32 v11, vcc, 0, v7, vcc
	global_load_dword v13, v12, s[4:5]
	global_load_dword v14, v12, s[4:5] offset:1024
	global_load_dword v15, v12, s[4:5] offset:2048
	;; [unrolled: 1-line block ×3, first 2 shown]
	global_load_dwordx2 v[6:7], v[10:11], off
	global_load_dwordx2 v[8:9], v[10:11], off offset:2048
	s_movk_i32 s4, 0x64
	s_waitcnt vmcnt(5)
	v_lshlrev_b32_e32 v10, 3, v13
	s_waitcnt vmcnt(4)
	v_lshlrev_b32_e32 v11, 3, v14
	;; [unrolled: 2-line block ×4, first 2 shown]
.LBB165_1:                              ; =>This Inner Loop Header: Depth=1
	ds_write_b64 v10, v[2:3]
	ds_write_b64 v11, v[4:5]
	s_waitcnt vmcnt(1)
	ds_write_b64 v12, v[6:7]
	s_waitcnt vmcnt(0)
	ds_write_b64 v13, v[8:9]
	s_waitcnt lgkmcnt(0)
	s_barrier
	ds_read2st64_b64 v[2:5], v1 offset1:4
	ds_read2st64_b64 v[6:9], v1 offset0:8 offset1:12
	s_add_i32 s4, s4, -1
	s_cmp_lg_u32 s4, 0
	s_waitcnt lgkmcnt(0)
	s_barrier
	s_cbranch_scc1 .LBB165_1
; %bb.2:
	s_add_u32 s0, s0, s2
	s_addc_u32 s1, s1, s3
	v_lshlrev_b32_e32 v0, 3, v0
	v_mov_b32_e32 v1, s1
	v_add_co_u32_e32 v10, vcc, s0, v0
	v_addc_co_u32_e32 v1, vcc, 0, v1, vcc
	global_store_dwordx2 v0, v[2:3], s[0:1]
	global_store_dwordx2 v0, v[4:5], s[0:1] offset:2048
	v_add_co_u32_e32 v0, vcc, 0x1000, v10
	v_addc_co_u32_e32 v1, vcc, 0, v1, vcc
	global_store_dwordx2 v[0:1], v[6:7], off
	global_store_dwordx2 v[0:1], v[8:9], off offset:2048
	s_endpgm
	.section	.rodata,"a",@progbits
	.p2align	6, 0x0
	.amdhsa_kernel _Z6kernelI18scatter_to_stripedxLj256ELj4ELj100EEvPKT0_PKjPS1_
		.amdhsa_group_segment_fixed_size 8448
		.amdhsa_private_segment_fixed_size 0
		.amdhsa_kernarg_size 24
		.amdhsa_user_sgpr_count 6
		.amdhsa_user_sgpr_private_segment_buffer 1
		.amdhsa_user_sgpr_dispatch_ptr 0
		.amdhsa_user_sgpr_queue_ptr 0
		.amdhsa_user_sgpr_kernarg_segment_ptr 1
		.amdhsa_user_sgpr_dispatch_id 0
		.amdhsa_user_sgpr_flat_scratch_init 0
		.amdhsa_user_sgpr_kernarg_preload_length 0
		.amdhsa_user_sgpr_kernarg_preload_offset 0
		.amdhsa_user_sgpr_private_segment_size 0
		.amdhsa_uses_dynamic_stack 0
		.amdhsa_system_sgpr_private_segment_wavefront_offset 0
		.amdhsa_system_sgpr_workgroup_id_x 1
		.amdhsa_system_sgpr_workgroup_id_y 0
		.amdhsa_system_sgpr_workgroup_id_z 0
		.amdhsa_system_sgpr_workgroup_info 0
		.amdhsa_system_vgpr_workitem_id 0
		.amdhsa_next_free_vgpr 17
		.amdhsa_next_free_sgpr 12
		.amdhsa_accum_offset 20
		.amdhsa_reserve_vcc 1
		.amdhsa_reserve_flat_scratch 0
		.amdhsa_float_round_mode_32 0
		.amdhsa_float_round_mode_16_64 0
		.amdhsa_float_denorm_mode_32 3
		.amdhsa_float_denorm_mode_16_64 3
		.amdhsa_dx10_clamp 1
		.amdhsa_ieee_mode 1
		.amdhsa_fp16_overflow 0
		.amdhsa_tg_split 0
		.amdhsa_exception_fp_ieee_invalid_op 0
		.amdhsa_exception_fp_denorm_src 0
		.amdhsa_exception_fp_ieee_div_zero 0
		.amdhsa_exception_fp_ieee_overflow 0
		.amdhsa_exception_fp_ieee_underflow 0
		.amdhsa_exception_fp_ieee_inexact 0
		.amdhsa_exception_int_div_zero 0
	.end_amdhsa_kernel
	.section	.text._Z6kernelI18scatter_to_stripedxLj256ELj4ELj100EEvPKT0_PKjPS1_,"axG",@progbits,_Z6kernelI18scatter_to_stripedxLj256ELj4ELj100EEvPKT0_PKjPS1_,comdat
.Lfunc_end165:
	.size	_Z6kernelI18scatter_to_stripedxLj256ELj4ELj100EEvPKT0_PKjPS1_, .Lfunc_end165-_Z6kernelI18scatter_to_stripedxLj256ELj4ELj100EEvPKT0_PKjPS1_
                                        ; -- End function
	.section	.AMDGPU.csdata,"",@progbits
; Kernel info:
; codeLenInByte = 340
; NumSgprs: 16
; NumVgprs: 17
; NumAgprs: 0
; TotalNumVgprs: 17
; ScratchSize: 0
; MemoryBound: 0
; FloatMode: 240
; IeeeMode: 1
; LDSByteSize: 8448 bytes/workgroup (compile time only)
; SGPRBlocks: 1
; VGPRBlocks: 2
; NumSGPRsForWavesPerEU: 16
; NumVGPRsForWavesPerEU: 17
; AccumOffset: 20
; Occupancy: 7
; WaveLimiterHint : 1
; COMPUTE_PGM_RSRC2:SCRATCH_EN: 0
; COMPUTE_PGM_RSRC2:USER_SGPR: 6
; COMPUTE_PGM_RSRC2:TRAP_HANDLER: 0
; COMPUTE_PGM_RSRC2:TGID_X_EN: 1
; COMPUTE_PGM_RSRC2:TGID_Y_EN: 0
; COMPUTE_PGM_RSRC2:TGID_Z_EN: 0
; COMPUTE_PGM_RSRC2:TIDIG_COMP_CNT: 0
; COMPUTE_PGM_RSRC3_GFX90A:ACCUM_OFFSET: 4
; COMPUTE_PGM_RSRC3_GFX90A:TG_SPLIT: 0
	.section	.text._Z6kernelI18scatter_to_stripedxLj256ELj7ELj100EEvPKT0_PKjPS1_,"axG",@progbits,_Z6kernelI18scatter_to_stripedxLj256ELj7ELj100EEvPKT0_PKjPS1_,comdat
	.protected	_Z6kernelI18scatter_to_stripedxLj256ELj7ELj100EEvPKT0_PKjPS1_ ; -- Begin function _Z6kernelI18scatter_to_stripedxLj256ELj7ELj100EEvPKT0_PKjPS1_
	.globl	_Z6kernelI18scatter_to_stripedxLj256ELj7ELj100EEvPKT0_PKjPS1_
	.p2align	8
	.type	_Z6kernelI18scatter_to_stripedxLj256ELj7ELj100EEvPKT0_PKjPS1_,@function
_Z6kernelI18scatter_to_stripedxLj256ELj7ELj100EEvPKT0_PKjPS1_: ; @_Z6kernelI18scatter_to_stripedxLj256ELj7ELj100EEvPKT0_PKjPS1_
; %bb.0:
	s_load_dwordx4 s[0:3], s[4:5], 0x0
	s_load_dwordx2 s[8:9], s[4:5], 0x10
	s_mulk_i32 s6, 0x700
	s_mov_b32 s7, 0
	s_lshl_b64 s[4:5], s[6:7], 3
	s_waitcnt lgkmcnt(0)
	s_add_u32 s0, s0, s4
	s_addc_u32 s1, s1, s5
	v_lshlrev_b32_e32 v1, 3, v0
	v_mov_b32_e32 v2, s1
	v_add_co_u32_e32 v14, vcc, s0, v1
	v_addc_co_u32_e32 v15, vcc, 0, v2, vcc
	global_load_dwordx2 v[2:3], v1, s[0:1]
	global_load_dwordx2 v[4:5], v1, s[0:1] offset:2048
	s_movk_i32 s0, 0x1000
	v_add_co_u32_e32 v16, vcc, s0, v14
	v_addc_co_u32_e32 v17, vcc, 0, v15, vcc
	s_movk_i32 s0, 0x2000
	v_add_co_u32_e32 v12, vcc, s0, v14
	v_addc_co_u32_e32 v13, vcc, 0, v15, vcc
	s_movk_i32 s0, 0x3000
	v_add_co_u32_e32 v18, vcc, s0, v14
	s_lshl_b64 s[0:1], s[6:7], 2
	s_add_u32 s0, s2, s0
	v_addc_co_u32_e32 v19, vcc, 0, v15, vcc
	s_addc_u32 s1, s3, s1
	v_lshlrev_b32_e32 v22, 2, v0
	global_load_dwordx2 v[10:11], v[12:13], off offset:-4096
	global_load_dwordx2 v[6:7], v[12:13], off
	global_load_dwordx2 v[8:9], v[12:13], off offset:2048
	v_mov_b32_e32 v12, s1
	v_add_co_u32_e32 v13, vcc, s0, v22
	v_addc_co_u32_e32 v12, vcc, 0, v12, vcc
	v_add_co_u32_e32 v20, vcc, 0x1000, v13
	v_addc_co_u32_e32 v21, vcc, 0, v12, vcc
	global_load_dword v23, v22, s[0:1]
	global_load_dword v24, v22, s[0:1] offset:1024
	global_load_dword v25, v22, s[0:1] offset:2048
	;; [unrolled: 1-line block ×3, first 2 shown]
	global_load_dword v27, v[20:21], off
	global_load_dword v28, v[20:21], off offset:1024
	global_load_dword v29, v[20:21], off offset:2048
	global_load_dwordx2 v[12:13], v[16:17], off offset:2048
	global_load_dwordx2 v[14:15], v[18:19], off
	s_movk_i32 s0, 0x64
	s_waitcnt vmcnt(8)
	v_lshlrev_b32_e32 v16, 3, v23
	s_waitcnt vmcnt(7)
	v_lshlrev_b32_e32 v17, 3, v24
	;; [unrolled: 2-line block ×7, first 2 shown]
.LBB166_1:                              ; =>This Inner Loop Header: Depth=1
	ds_write_b64 v16, v[2:3]
	ds_write_b64 v17, v[4:5]
	;; [unrolled: 1-line block ×3, first 2 shown]
	s_waitcnt vmcnt(1)
	ds_write_b64 v19, v[12:13]
	ds_write_b64 v20, v[6:7]
	;; [unrolled: 1-line block ×3, first 2 shown]
	s_waitcnt vmcnt(0)
	ds_write_b64 v22, v[14:15]
	s_waitcnt lgkmcnt(0)
	s_barrier
	ds_read2st64_b64 v[2:5], v1 offset1:4
	ds_read2st64_b64 v[10:13], v1 offset0:8 offset1:12
	ds_read2st64_b64 v[6:9], v1 offset0:16 offset1:20
	ds_read_b64 v[14:15], v1 offset:12288
	s_add_i32 s0, s0, -1
	s_cmp_lg_u32 s0, 0
	s_waitcnt lgkmcnt(0)
	s_barrier
	s_cbranch_scc1 .LBB166_1
; %bb.2:
	s_add_u32 s0, s8, s4
	s_addc_u32 s1, s9, s5
	v_lshlrev_b32_e32 v0, 3, v0
	v_mov_b32_e32 v1, s1
	v_add_co_u32_e32 v16, vcc, s0, v0
	v_addc_co_u32_e32 v17, vcc, 0, v1, vcc
	global_store_dwordx2 v0, v[2:3], s[0:1]
	global_store_dwordx2 v0, v[4:5], s[0:1] offset:2048
	v_add_co_u32_e32 v0, vcc, 0x1000, v16
	v_addc_co_u32_e32 v1, vcc, 0, v17, vcc
	global_store_dwordx2 v[0:1], v[10:11], off
	global_store_dwordx2 v[0:1], v[12:13], off offset:2048
	v_add_co_u32_e32 v0, vcc, 0x2000, v16
	v_addc_co_u32_e32 v1, vcc, 0, v17, vcc
	global_store_dwordx2 v[0:1], v[6:7], off
	global_store_dwordx2 v[0:1], v[8:9], off offset:2048
	v_add_co_u32_e32 v0, vcc, 0x3000, v16
	v_addc_co_u32_e32 v1, vcc, 0, v17, vcc
	global_store_dwordx2 v[0:1], v[14:15], off
	s_endpgm
	.section	.rodata,"a",@progbits
	.p2align	6, 0x0
	.amdhsa_kernel _Z6kernelI18scatter_to_stripedxLj256ELj7ELj100EEvPKT0_PKjPS1_
		.amdhsa_group_segment_fixed_size 14336
		.amdhsa_private_segment_fixed_size 0
		.amdhsa_kernarg_size 24
		.amdhsa_user_sgpr_count 6
		.amdhsa_user_sgpr_private_segment_buffer 1
		.amdhsa_user_sgpr_dispatch_ptr 0
		.amdhsa_user_sgpr_queue_ptr 0
		.amdhsa_user_sgpr_kernarg_segment_ptr 1
		.amdhsa_user_sgpr_dispatch_id 0
		.amdhsa_user_sgpr_flat_scratch_init 0
		.amdhsa_user_sgpr_kernarg_preload_length 0
		.amdhsa_user_sgpr_kernarg_preload_offset 0
		.amdhsa_user_sgpr_private_segment_size 0
		.amdhsa_uses_dynamic_stack 0
		.amdhsa_system_sgpr_private_segment_wavefront_offset 0
		.amdhsa_system_sgpr_workgroup_id_x 1
		.amdhsa_system_sgpr_workgroup_id_y 0
		.amdhsa_system_sgpr_workgroup_id_z 0
		.amdhsa_system_sgpr_workgroup_info 0
		.amdhsa_system_vgpr_workitem_id 0
		.amdhsa_next_free_vgpr 30
		.amdhsa_next_free_sgpr 10
		.amdhsa_accum_offset 32
		.amdhsa_reserve_vcc 1
		.amdhsa_reserve_flat_scratch 0
		.amdhsa_float_round_mode_32 0
		.amdhsa_float_round_mode_16_64 0
		.amdhsa_float_denorm_mode_32 3
		.amdhsa_float_denorm_mode_16_64 3
		.amdhsa_dx10_clamp 1
		.amdhsa_ieee_mode 1
		.amdhsa_fp16_overflow 0
		.amdhsa_tg_split 0
		.amdhsa_exception_fp_ieee_invalid_op 0
		.amdhsa_exception_fp_denorm_src 0
		.amdhsa_exception_fp_ieee_div_zero 0
		.amdhsa_exception_fp_ieee_overflow 0
		.amdhsa_exception_fp_ieee_underflow 0
		.amdhsa_exception_fp_ieee_inexact 0
		.amdhsa_exception_int_div_zero 0
	.end_amdhsa_kernel
	.section	.text._Z6kernelI18scatter_to_stripedxLj256ELj7ELj100EEvPKT0_PKjPS1_,"axG",@progbits,_Z6kernelI18scatter_to_stripedxLj256ELj7ELj100EEvPKT0_PKjPS1_,comdat
.Lfunc_end166:
	.size	_Z6kernelI18scatter_to_stripedxLj256ELj7ELj100EEvPKT0_PKjPS1_, .Lfunc_end166-_Z6kernelI18scatter_to_stripedxLj256ELj7ELj100EEvPKT0_PKjPS1_
                                        ; -- End function
	.section	.AMDGPU.csdata,"",@progbits
; Kernel info:
; codeLenInByte = 548
; NumSgprs: 14
; NumVgprs: 30
; NumAgprs: 0
; TotalNumVgprs: 30
; ScratchSize: 0
; MemoryBound: 1
; FloatMode: 240
; IeeeMode: 1
; LDSByteSize: 14336 bytes/workgroup (compile time only)
; SGPRBlocks: 1
; VGPRBlocks: 3
; NumSGPRsForWavesPerEU: 14
; NumVGPRsForWavesPerEU: 30
; AccumOffset: 32
; Occupancy: 4
; WaveLimiterHint : 1
; COMPUTE_PGM_RSRC2:SCRATCH_EN: 0
; COMPUTE_PGM_RSRC2:USER_SGPR: 6
; COMPUTE_PGM_RSRC2:TRAP_HANDLER: 0
; COMPUTE_PGM_RSRC2:TGID_X_EN: 1
; COMPUTE_PGM_RSRC2:TGID_Y_EN: 0
; COMPUTE_PGM_RSRC2:TGID_Z_EN: 0
; COMPUTE_PGM_RSRC2:TIDIG_COMP_CNT: 0
; COMPUTE_PGM_RSRC3_GFX90A:ACCUM_OFFSET: 7
; COMPUTE_PGM_RSRC3_GFX90A:TG_SPLIT: 0
	.section	.text._Z6kernelI18scatter_to_stripedxLj256ELj8ELj100EEvPKT0_PKjPS1_,"axG",@progbits,_Z6kernelI18scatter_to_stripedxLj256ELj8ELj100EEvPKT0_PKjPS1_,comdat
	.protected	_Z6kernelI18scatter_to_stripedxLj256ELj8ELj100EEvPKT0_PKjPS1_ ; -- Begin function _Z6kernelI18scatter_to_stripedxLj256ELj8ELj100EEvPKT0_PKjPS1_
	.globl	_Z6kernelI18scatter_to_stripedxLj256ELj8ELj100EEvPKT0_PKjPS1_
	.p2align	8
	.type	_Z6kernelI18scatter_to_stripedxLj256ELj8ELj100EEvPKT0_PKjPS1_,@function
_Z6kernelI18scatter_to_stripedxLj256ELj8ELj100EEvPKT0_PKjPS1_: ; @_Z6kernelI18scatter_to_stripedxLj256ELj8ELj100EEvPKT0_PKjPS1_
; %bb.0:
	s_load_dwordx4 s[0:3], s[4:5], 0x0
	s_load_dwordx2 s[8:9], s[4:5], 0x10
	s_lshl_b32 s6, s6, 11
	s_mov_b32 s7, 0
	s_lshl_b64 s[4:5], s[6:7], 3
	s_waitcnt lgkmcnt(0)
	s_add_u32 s0, s0, s4
	s_addc_u32 s1, s1, s5
	v_lshlrev_b32_e32 v1, 3, v0
	v_mov_b32_e32 v2, s1
	v_add_co_u32_e32 v14, vcc, s0, v1
	v_addc_co_u32_e32 v15, vcc, 0, v2, vcc
	s_movk_i32 s10, 0x1000
	v_add_co_u32_e32 v18, vcc, s10, v14
	global_load_dwordx2 v[2:3], v1, s[0:1]
	global_load_dwordx2 v[4:5], v1, s[0:1] offset:2048
	v_addc_co_u32_e32 v19, vcc, 0, v15, vcc
	s_movk_i32 s0, 0x2000
	v_add_co_u32_e32 v12, vcc, s0, v14
	v_addc_co_u32_e32 v13, vcc, 0, v15, vcc
	s_movk_i32 s0, 0x3000
	v_add_co_u32_e32 v20, vcc, s0, v14
	s_lshl_b64 s[0:1], s[6:7], 2
	s_add_u32 s0, s2, s0
	v_addc_co_u32_e32 v21, vcc, 0, v15, vcc
	s_addc_u32 s1, s3, s1
	v_lshlrev_b32_e32 v24, 2, v0
	global_load_dwordx2 v[10:11], v[12:13], off offset:-4096
	global_load_dwordx2 v[6:7], v[12:13], off
	global_load_dwordx2 v[8:9], v[12:13], off offset:2048
	v_mov_b32_e32 v12, s1
	v_add_co_u32_e32 v13, vcc, s0, v24
	v_addc_co_u32_e32 v12, vcc, 0, v12, vcc
	v_add_co_u32_e32 v22, vcc, s10, v13
	v_addc_co_u32_e32 v23, vcc, 0, v12, vcc
	global_load_dword v25, v24, s[0:1]
	global_load_dword v26, v24, s[0:1] offset:1024
	global_load_dword v27, v24, s[0:1] offset:2048
	;; [unrolled: 1-line block ×3, first 2 shown]
	global_load_dword v29, v[22:23], off
	global_load_dword v30, v[22:23], off offset:1024
	global_load_dword v31, v[22:23], off offset:2048
	;; [unrolled: 1-line block ×3, first 2 shown]
	global_load_dwordx2 v[12:13], v[18:19], off offset:2048
	global_load_dwordx2 v[14:15], v[20:21], off
	global_load_dwordx2 v[16:17], v[20:21], off offset:2048
	s_movk_i32 s0, 0x64
	s_waitcnt vmcnt(10)
	v_lshlrev_b32_e32 v18, 3, v25
	s_waitcnt vmcnt(9)
	v_lshlrev_b32_e32 v19, 3, v26
	;; [unrolled: 2-line block ×8, first 2 shown]
.LBB167_1:                              ; =>This Inner Loop Header: Depth=1
	ds_write_b64 v18, v[2:3]
	ds_write_b64 v19, v[4:5]
	;; [unrolled: 1-line block ×3, first 2 shown]
	s_waitcnt vmcnt(2)
	ds_write_b64 v21, v[12:13]
	ds_write_b64 v22, v[6:7]
	;; [unrolled: 1-line block ×3, first 2 shown]
	s_waitcnt vmcnt(1)
	ds_write_b64 v24, v[14:15]
	s_waitcnt vmcnt(0)
	ds_write_b64 v25, v[16:17]
	s_waitcnt lgkmcnt(0)
	s_barrier
	ds_read2st64_b64 v[2:5], v1 offset1:4
	ds_read2st64_b64 v[10:13], v1 offset0:8 offset1:12
	ds_read2st64_b64 v[6:9], v1 offset0:16 offset1:20
	;; [unrolled: 1-line block ×3, first 2 shown]
	s_add_i32 s0, s0, -1
	s_cmp_lg_u32 s0, 0
	s_waitcnt lgkmcnt(0)
	s_barrier
	s_cbranch_scc1 .LBB167_1
; %bb.2:
	s_add_u32 s0, s8, s4
	s_addc_u32 s1, s9, s5
	v_lshlrev_b32_e32 v0, 3, v0
	v_mov_b32_e32 v1, s1
	v_add_co_u32_e32 v18, vcc, s0, v0
	v_addc_co_u32_e32 v19, vcc, 0, v1, vcc
	global_store_dwordx2 v0, v[2:3], s[0:1]
	global_store_dwordx2 v0, v[4:5], s[0:1] offset:2048
	v_add_co_u32_e32 v0, vcc, 0x1000, v18
	v_addc_co_u32_e32 v1, vcc, 0, v19, vcc
	global_store_dwordx2 v[0:1], v[10:11], off
	global_store_dwordx2 v[0:1], v[12:13], off offset:2048
	v_add_co_u32_e32 v0, vcc, 0x2000, v18
	v_addc_co_u32_e32 v1, vcc, 0, v19, vcc
	global_store_dwordx2 v[0:1], v[6:7], off
	global_store_dwordx2 v[0:1], v[8:9], off offset:2048
	;; [unrolled: 4-line block ×3, first 2 shown]
	s_endpgm
	.section	.rodata,"a",@progbits
	.p2align	6, 0x0
	.amdhsa_kernel _Z6kernelI18scatter_to_stripedxLj256ELj8ELj100EEvPKT0_PKjPS1_
		.amdhsa_group_segment_fixed_size 16896
		.amdhsa_private_segment_fixed_size 0
		.amdhsa_kernarg_size 24
		.amdhsa_user_sgpr_count 6
		.amdhsa_user_sgpr_private_segment_buffer 1
		.amdhsa_user_sgpr_dispatch_ptr 0
		.amdhsa_user_sgpr_queue_ptr 0
		.amdhsa_user_sgpr_kernarg_segment_ptr 1
		.amdhsa_user_sgpr_dispatch_id 0
		.amdhsa_user_sgpr_flat_scratch_init 0
		.amdhsa_user_sgpr_kernarg_preload_length 0
		.amdhsa_user_sgpr_kernarg_preload_offset 0
		.amdhsa_user_sgpr_private_segment_size 0
		.amdhsa_uses_dynamic_stack 0
		.amdhsa_system_sgpr_private_segment_wavefront_offset 0
		.amdhsa_system_sgpr_workgroup_id_x 1
		.amdhsa_system_sgpr_workgroup_id_y 0
		.amdhsa_system_sgpr_workgroup_id_z 0
		.amdhsa_system_sgpr_workgroup_info 0
		.amdhsa_system_vgpr_workitem_id 0
		.amdhsa_next_free_vgpr 33
		.amdhsa_next_free_sgpr 11
		.amdhsa_accum_offset 36
		.amdhsa_reserve_vcc 1
		.amdhsa_reserve_flat_scratch 0
		.amdhsa_float_round_mode_32 0
		.amdhsa_float_round_mode_16_64 0
		.amdhsa_float_denorm_mode_32 3
		.amdhsa_float_denorm_mode_16_64 3
		.amdhsa_dx10_clamp 1
		.amdhsa_ieee_mode 1
		.amdhsa_fp16_overflow 0
		.amdhsa_tg_split 0
		.amdhsa_exception_fp_ieee_invalid_op 0
		.amdhsa_exception_fp_denorm_src 0
		.amdhsa_exception_fp_ieee_div_zero 0
		.amdhsa_exception_fp_ieee_overflow 0
		.amdhsa_exception_fp_ieee_underflow 0
		.amdhsa_exception_fp_ieee_inexact 0
		.amdhsa_exception_int_div_zero 0
	.end_amdhsa_kernel
	.section	.text._Z6kernelI18scatter_to_stripedxLj256ELj8ELj100EEvPKT0_PKjPS1_,"axG",@progbits,_Z6kernelI18scatter_to_stripedxLj256ELj8ELj100EEvPKT0_PKjPS1_,comdat
.Lfunc_end167:
	.size	_Z6kernelI18scatter_to_stripedxLj256ELj8ELj100EEvPKT0_PKjPS1_, .Lfunc_end167-_Z6kernelI18scatter_to_stripedxLj256ELj8ELj100EEvPKT0_PKjPS1_
                                        ; -- End function
	.section	.AMDGPU.csdata,"",@progbits
; Kernel info:
; codeLenInByte = 588
; NumSgprs: 15
; NumVgprs: 33
; NumAgprs: 0
; TotalNumVgprs: 33
; ScratchSize: 0
; MemoryBound: 1
; FloatMode: 240
; IeeeMode: 1
; LDSByteSize: 16896 bytes/workgroup (compile time only)
; SGPRBlocks: 1
; VGPRBlocks: 4
; NumSGPRsForWavesPerEU: 15
; NumVGPRsForWavesPerEU: 33
; AccumOffset: 36
; Occupancy: 3
; WaveLimiterHint : 1
; COMPUTE_PGM_RSRC2:SCRATCH_EN: 0
; COMPUTE_PGM_RSRC2:USER_SGPR: 6
; COMPUTE_PGM_RSRC2:TRAP_HANDLER: 0
; COMPUTE_PGM_RSRC2:TGID_X_EN: 1
; COMPUTE_PGM_RSRC2:TGID_Y_EN: 0
; COMPUTE_PGM_RSRC2:TGID_Z_EN: 0
; COMPUTE_PGM_RSRC2:TIDIG_COMP_CNT: 0
; COMPUTE_PGM_RSRC3_GFX90A:ACCUM_OFFSET: 8
; COMPUTE_PGM_RSRC3_GFX90A:TG_SPLIT: 0
	.section	.text._Z6kernelI18scatter_to_stripedN15benchmark_utils11custom_typeIffEELj256ELj1ELj100EEvPKT0_PKjPS4_,"axG",@progbits,_Z6kernelI18scatter_to_stripedN15benchmark_utils11custom_typeIffEELj256ELj1ELj100EEvPKT0_PKjPS4_,comdat
	.protected	_Z6kernelI18scatter_to_stripedN15benchmark_utils11custom_typeIffEELj256ELj1ELj100EEvPKT0_PKjPS4_ ; -- Begin function _Z6kernelI18scatter_to_stripedN15benchmark_utils11custom_typeIffEELj256ELj1ELj100EEvPKT0_PKjPS4_
	.globl	_Z6kernelI18scatter_to_stripedN15benchmark_utils11custom_typeIffEELj256ELj1ELj100EEvPKT0_PKjPS4_
	.p2align	8
	.type	_Z6kernelI18scatter_to_stripedN15benchmark_utils11custom_typeIffEELj256ELj1ELj100EEvPKT0_PKjPS4_,@function
_Z6kernelI18scatter_to_stripedN15benchmark_utils11custom_typeIffEELj256ELj1ELj100EEvPKT0_PKjPS4_: ; @_Z6kernelI18scatter_to_stripedN15benchmark_utils11custom_typeIffEELj256ELj1ELj100EEvPKT0_PKjPS4_
; %bb.0:
	s_load_dwordx4 s[8:11], s[4:5], 0x0
	s_load_dwordx2 s[0:1], s[4:5], 0x10
	s_lshl_b32 s4, s6, 8
	s_mov_b32 s5, 0
	s_lshl_b64 s[2:3], s[4:5], 3
	s_waitcnt lgkmcnt(0)
	s_add_u32 s6, s8, s2
	s_addc_u32 s7, s9, s3
	s_lshl_b64 s[4:5], s[4:5], 2
	s_add_u32 s4, s10, s4
	s_addc_u32 s5, s11, s5
	v_lshlrev_b32_e32 v1, 2, v0
	global_load_dword v4, v1, s[4:5]
	v_lshlrev_b32_e32 v1, 3, v0
	global_load_dwordx2 v[2:3], v1, s[6:7]
	s_movk_i32 s4, 0x64
	s_waitcnt vmcnt(1)
	v_lshlrev_b32_e32 v4, 3, v4
.LBB168_1:                              ; =>This Inner Loop Header: Depth=1
	s_waitcnt vmcnt(0)
	ds_write_b64 v4, v[2:3]
	s_waitcnt lgkmcnt(0)
	s_barrier
	ds_read_b64 v[2:3], v1
	s_add_i32 s4, s4, -1
	s_cmp_lg_u32 s4, 0
	s_waitcnt lgkmcnt(0)
	s_barrier
	s_cbranch_scc1 .LBB168_1
; %bb.2:
	s_add_u32 s0, s0, s2
	s_addc_u32 s1, s1, s3
	v_lshlrev_b32_e32 v0, 3, v0
	global_store_dwordx2 v0, v[2:3], s[0:1]
	s_endpgm
	.section	.rodata,"a",@progbits
	.p2align	6, 0x0
	.amdhsa_kernel _Z6kernelI18scatter_to_stripedN15benchmark_utils11custom_typeIffEELj256ELj1ELj100EEvPKT0_PKjPS4_
		.amdhsa_group_segment_fixed_size 2048
		.amdhsa_private_segment_fixed_size 0
		.amdhsa_kernarg_size 24
		.amdhsa_user_sgpr_count 6
		.amdhsa_user_sgpr_private_segment_buffer 1
		.amdhsa_user_sgpr_dispatch_ptr 0
		.amdhsa_user_sgpr_queue_ptr 0
		.amdhsa_user_sgpr_kernarg_segment_ptr 1
		.amdhsa_user_sgpr_dispatch_id 0
		.amdhsa_user_sgpr_flat_scratch_init 0
		.amdhsa_user_sgpr_kernarg_preload_length 0
		.amdhsa_user_sgpr_kernarg_preload_offset 0
		.amdhsa_user_sgpr_private_segment_size 0
		.amdhsa_uses_dynamic_stack 0
		.amdhsa_system_sgpr_private_segment_wavefront_offset 0
		.amdhsa_system_sgpr_workgroup_id_x 1
		.amdhsa_system_sgpr_workgroup_id_y 0
		.amdhsa_system_sgpr_workgroup_id_z 0
		.amdhsa_system_sgpr_workgroup_info 0
		.amdhsa_system_vgpr_workitem_id 0
		.amdhsa_next_free_vgpr 5
		.amdhsa_next_free_sgpr 12
		.amdhsa_accum_offset 8
		.amdhsa_reserve_vcc 0
		.amdhsa_reserve_flat_scratch 0
		.amdhsa_float_round_mode_32 0
		.amdhsa_float_round_mode_16_64 0
		.amdhsa_float_denorm_mode_32 3
		.amdhsa_float_denorm_mode_16_64 3
		.amdhsa_dx10_clamp 1
		.amdhsa_ieee_mode 1
		.amdhsa_fp16_overflow 0
		.amdhsa_tg_split 0
		.amdhsa_exception_fp_ieee_invalid_op 0
		.amdhsa_exception_fp_denorm_src 0
		.amdhsa_exception_fp_ieee_div_zero 0
		.amdhsa_exception_fp_ieee_overflow 0
		.amdhsa_exception_fp_ieee_underflow 0
		.amdhsa_exception_fp_ieee_inexact 0
		.amdhsa_exception_int_div_zero 0
	.end_amdhsa_kernel
	.section	.text._Z6kernelI18scatter_to_stripedN15benchmark_utils11custom_typeIffEELj256ELj1ELj100EEvPKT0_PKjPS4_,"axG",@progbits,_Z6kernelI18scatter_to_stripedN15benchmark_utils11custom_typeIffEELj256ELj1ELj100EEvPKT0_PKjPS4_,comdat
.Lfunc_end168:
	.size	_Z6kernelI18scatter_to_stripedN15benchmark_utils11custom_typeIffEELj256ELj1ELj100EEvPKT0_PKjPS4_, .Lfunc_end168-_Z6kernelI18scatter_to_stripedN15benchmark_utils11custom_typeIffEELj256ELj1ELj100EEvPKT0_PKjPS4_
                                        ; -- End function
	.section	.AMDGPU.csdata,"",@progbits
; Kernel info:
; codeLenInByte = 160
; NumSgprs: 16
; NumVgprs: 5
; NumAgprs: 0
; TotalNumVgprs: 5
; ScratchSize: 0
; MemoryBound: 0
; FloatMode: 240
; IeeeMode: 1
; LDSByteSize: 2048 bytes/workgroup (compile time only)
; SGPRBlocks: 1
; VGPRBlocks: 0
; NumSGPRsForWavesPerEU: 16
; NumVGPRsForWavesPerEU: 5
; AccumOffset: 8
; Occupancy: 8
; WaveLimiterHint : 0
; COMPUTE_PGM_RSRC2:SCRATCH_EN: 0
; COMPUTE_PGM_RSRC2:USER_SGPR: 6
; COMPUTE_PGM_RSRC2:TRAP_HANDLER: 0
; COMPUTE_PGM_RSRC2:TGID_X_EN: 1
; COMPUTE_PGM_RSRC2:TGID_Y_EN: 0
; COMPUTE_PGM_RSRC2:TGID_Z_EN: 0
; COMPUTE_PGM_RSRC2:TIDIG_COMP_CNT: 0
; COMPUTE_PGM_RSRC3_GFX90A:ACCUM_OFFSET: 1
; COMPUTE_PGM_RSRC3_GFX90A:TG_SPLIT: 0
	.section	.text._Z6kernelI18scatter_to_stripedN15benchmark_utils11custom_typeIffEELj256ELj2ELj100EEvPKT0_PKjPS4_,"axG",@progbits,_Z6kernelI18scatter_to_stripedN15benchmark_utils11custom_typeIffEELj256ELj2ELj100EEvPKT0_PKjPS4_,comdat
	.protected	_Z6kernelI18scatter_to_stripedN15benchmark_utils11custom_typeIffEELj256ELj2ELj100EEvPKT0_PKjPS4_ ; -- Begin function _Z6kernelI18scatter_to_stripedN15benchmark_utils11custom_typeIffEELj256ELj2ELj100EEvPKT0_PKjPS4_
	.globl	_Z6kernelI18scatter_to_stripedN15benchmark_utils11custom_typeIffEELj256ELj2ELj100EEvPKT0_PKjPS4_
	.p2align	8
	.type	_Z6kernelI18scatter_to_stripedN15benchmark_utils11custom_typeIffEELj256ELj2ELj100EEvPKT0_PKjPS4_,@function
_Z6kernelI18scatter_to_stripedN15benchmark_utils11custom_typeIffEELj256ELj2ELj100EEvPKT0_PKjPS4_: ; @_Z6kernelI18scatter_to_stripedN15benchmark_utils11custom_typeIffEELj256ELj2ELj100EEvPKT0_PKjPS4_
; %bb.0:
	s_load_dwordx4 s[8:11], s[4:5], 0x0
	s_load_dwordx2 s[0:1], s[4:5], 0x10
	s_lshl_b32 s4, s6, 9
	s_mov_b32 s5, 0
	s_lshl_b64 s[2:3], s[4:5], 3
	s_waitcnt lgkmcnt(0)
	s_add_u32 s6, s8, s2
	s_addc_u32 s7, s9, s3
	s_lshl_b64 s[4:5], s[4:5], 2
	s_add_u32 s4, s10, s4
	s_addc_u32 s5, s11, s5
	v_lshlrev_b32_e32 v6, 2, v0
	v_lshlrev_b32_e32 v1, 3, v0
	global_load_dword v7, v6, s[4:5]
	global_load_dword v8, v6, s[4:5] offset:1024
	global_load_dwordx2 v[2:3], v1, s[6:7]
	global_load_dwordx2 v[4:5], v1, s[6:7] offset:2048
	s_movk_i32 s4, 0x64
	s_waitcnt vmcnt(3)
	v_lshlrev_b32_e32 v6, 3, v7
	s_waitcnt vmcnt(2)
	v_lshlrev_b32_e32 v7, 3, v8
.LBB169_1:                              ; =>This Inner Loop Header: Depth=1
	s_waitcnt vmcnt(1)
	ds_write_b64 v6, v[2:3]
	s_waitcnt vmcnt(0)
	ds_write_b64 v7, v[4:5]
	s_waitcnt lgkmcnt(0)
	s_barrier
	ds_read2st64_b64 v[2:5], v1 offset1:4
	s_add_i32 s4, s4, -1
	s_cmp_lg_u32 s4, 0
	s_waitcnt lgkmcnt(0)
	s_barrier
	s_cbranch_scc1 .LBB169_1
; %bb.2:
	s_add_u32 s0, s0, s2
	s_addc_u32 s1, s1, s3
	v_lshlrev_b32_e32 v0, 3, v0
	global_store_dwordx2 v0, v[2:3], s[0:1]
	global_store_dwordx2 v0, v[4:5], s[0:1] offset:2048
	s_endpgm
	.section	.rodata,"a",@progbits
	.p2align	6, 0x0
	.amdhsa_kernel _Z6kernelI18scatter_to_stripedN15benchmark_utils11custom_typeIffEELj256ELj2ELj100EEvPKT0_PKjPS4_
		.amdhsa_group_segment_fixed_size 4224
		.amdhsa_private_segment_fixed_size 0
		.amdhsa_kernarg_size 24
		.amdhsa_user_sgpr_count 6
		.amdhsa_user_sgpr_private_segment_buffer 1
		.amdhsa_user_sgpr_dispatch_ptr 0
		.amdhsa_user_sgpr_queue_ptr 0
		.amdhsa_user_sgpr_kernarg_segment_ptr 1
		.amdhsa_user_sgpr_dispatch_id 0
		.amdhsa_user_sgpr_flat_scratch_init 0
		.amdhsa_user_sgpr_kernarg_preload_length 0
		.amdhsa_user_sgpr_kernarg_preload_offset 0
		.amdhsa_user_sgpr_private_segment_size 0
		.amdhsa_uses_dynamic_stack 0
		.amdhsa_system_sgpr_private_segment_wavefront_offset 0
		.amdhsa_system_sgpr_workgroup_id_x 1
		.amdhsa_system_sgpr_workgroup_id_y 0
		.amdhsa_system_sgpr_workgroup_id_z 0
		.amdhsa_system_sgpr_workgroup_info 0
		.amdhsa_system_vgpr_workitem_id 0
		.amdhsa_next_free_vgpr 9
		.amdhsa_next_free_sgpr 12
		.amdhsa_accum_offset 12
		.amdhsa_reserve_vcc 0
		.amdhsa_reserve_flat_scratch 0
		.amdhsa_float_round_mode_32 0
		.amdhsa_float_round_mode_16_64 0
		.amdhsa_float_denorm_mode_32 3
		.amdhsa_float_denorm_mode_16_64 3
		.amdhsa_dx10_clamp 1
		.amdhsa_ieee_mode 1
		.amdhsa_fp16_overflow 0
		.amdhsa_tg_split 0
		.amdhsa_exception_fp_ieee_invalid_op 0
		.amdhsa_exception_fp_denorm_src 0
		.amdhsa_exception_fp_ieee_div_zero 0
		.amdhsa_exception_fp_ieee_overflow 0
		.amdhsa_exception_fp_ieee_underflow 0
		.amdhsa_exception_fp_ieee_inexact 0
		.amdhsa_exception_int_div_zero 0
	.end_amdhsa_kernel
	.section	.text._Z6kernelI18scatter_to_stripedN15benchmark_utils11custom_typeIffEELj256ELj2ELj100EEvPKT0_PKjPS4_,"axG",@progbits,_Z6kernelI18scatter_to_stripedN15benchmark_utils11custom_typeIffEELj256ELj2ELj100EEvPKT0_PKjPS4_,comdat
.Lfunc_end169:
	.size	_Z6kernelI18scatter_to_stripedN15benchmark_utils11custom_typeIffEELj256ELj2ELj100EEvPKT0_PKjPS4_, .Lfunc_end169-_Z6kernelI18scatter_to_stripedN15benchmark_utils11custom_typeIffEELj256ELj2ELj100EEvPKT0_PKjPS4_
                                        ; -- End function
	.section	.AMDGPU.csdata,"",@progbits
; Kernel info:
; codeLenInByte = 204
; NumSgprs: 16
; NumVgprs: 9
; NumAgprs: 0
; TotalNumVgprs: 9
; ScratchSize: 0
; MemoryBound: 0
; FloatMode: 240
; IeeeMode: 1
; LDSByteSize: 4224 bytes/workgroup (compile time only)
; SGPRBlocks: 1
; VGPRBlocks: 1
; NumSGPRsForWavesPerEU: 16
; NumVGPRsForWavesPerEU: 9
; AccumOffset: 12
; Occupancy: 8
; WaveLimiterHint : 1
; COMPUTE_PGM_RSRC2:SCRATCH_EN: 0
; COMPUTE_PGM_RSRC2:USER_SGPR: 6
; COMPUTE_PGM_RSRC2:TRAP_HANDLER: 0
; COMPUTE_PGM_RSRC2:TGID_X_EN: 1
; COMPUTE_PGM_RSRC2:TGID_Y_EN: 0
; COMPUTE_PGM_RSRC2:TGID_Z_EN: 0
; COMPUTE_PGM_RSRC2:TIDIG_COMP_CNT: 0
; COMPUTE_PGM_RSRC3_GFX90A:ACCUM_OFFSET: 2
; COMPUTE_PGM_RSRC3_GFX90A:TG_SPLIT: 0
	.section	.text._Z6kernelI18scatter_to_stripedN15benchmark_utils11custom_typeIffEELj256ELj3ELj100EEvPKT0_PKjPS4_,"axG",@progbits,_Z6kernelI18scatter_to_stripedN15benchmark_utils11custom_typeIffEELj256ELj3ELj100EEvPKT0_PKjPS4_,comdat
	.protected	_Z6kernelI18scatter_to_stripedN15benchmark_utils11custom_typeIffEELj256ELj3ELj100EEvPKT0_PKjPS4_ ; -- Begin function _Z6kernelI18scatter_to_stripedN15benchmark_utils11custom_typeIffEELj256ELj3ELj100EEvPKT0_PKjPS4_
	.globl	_Z6kernelI18scatter_to_stripedN15benchmark_utils11custom_typeIffEELj256ELj3ELj100EEvPKT0_PKjPS4_
	.p2align	8
	.type	_Z6kernelI18scatter_to_stripedN15benchmark_utils11custom_typeIffEELj256ELj3ELj100EEvPKT0_PKjPS4_,@function
_Z6kernelI18scatter_to_stripedN15benchmark_utils11custom_typeIffEELj256ELj3ELj100EEvPKT0_PKjPS4_: ; @_Z6kernelI18scatter_to_stripedN15benchmark_utils11custom_typeIffEELj256ELj3ELj100EEvPKT0_PKjPS4_
; %bb.0:
	s_load_dwordx4 s[8:11], s[4:5], 0x0
	s_load_dwordx2 s[0:1], s[4:5], 0x10
	s_mul_i32 s4, s6, 0x300
	s_mov_b32 s5, 0
	s_lshl_b64 s[2:3], s[4:5], 3
	s_waitcnt lgkmcnt(0)
	s_add_u32 s6, s8, s2
	s_addc_u32 s7, s9, s3
	v_lshlrev_b32_e32 v1, 3, v0
	v_mov_b32_e32 v2, s7
	v_add_co_u32_e32 v6, vcc, s6, v1
	s_lshl_b64 s[4:5], s[4:5], 2
	v_addc_co_u32_e32 v7, vcc, 0, v2, vcc
	global_load_dwordx2 v[2:3], v1, s[6:7]
	global_load_dwordx2 v[4:5], v1, s[6:7] offset:2048
	s_movk_i32 s6, 0x1000
	s_add_u32 s4, s10, s4
	v_add_co_u32_e32 v6, vcc, s6, v6
	s_addc_u32 s5, s11, s5
	v_lshlrev_b32_e32 v8, 2, v0
	global_load_dword v9, v8, s[4:5]
	global_load_dword v10, v8, s[4:5] offset:1024
	global_load_dword v11, v8, s[4:5] offset:2048
	v_addc_co_u32_e32 v7, vcc, 0, v7, vcc
	global_load_dwordx2 v[6:7], v[6:7], off
	s_movk_i32 s4, 0x64
	s_waitcnt vmcnt(3)
	v_lshlrev_b32_e32 v8, 3, v9
	s_waitcnt vmcnt(2)
	v_lshlrev_b32_e32 v9, 3, v10
	;; [unrolled: 2-line block ×3, first 2 shown]
.LBB170_1:                              ; =>This Inner Loop Header: Depth=1
	ds_write_b64 v8, v[2:3]
	ds_write_b64 v9, v[4:5]
	s_waitcnt vmcnt(0)
	ds_write_b64 v10, v[6:7]
	s_waitcnt lgkmcnt(0)
	s_barrier
	ds_read2st64_b64 v[2:5], v1 offset1:4
	ds_read_b64 v[6:7], v1 offset:4096
	s_add_i32 s4, s4, -1
	s_cmp_lg_u32 s4, 0
	s_waitcnt lgkmcnt(0)
	s_barrier
	s_cbranch_scc1 .LBB170_1
; %bb.2:
	s_add_u32 s0, s0, s2
	s_addc_u32 s1, s1, s3
	v_lshlrev_b32_e32 v0, 3, v0
	v_mov_b32_e32 v1, s1
	v_add_co_u32_e32 v8, vcc, s0, v0
	v_addc_co_u32_e32 v1, vcc, 0, v1, vcc
	global_store_dwordx2 v0, v[2:3], s[0:1]
	global_store_dwordx2 v0, v[4:5], s[0:1] offset:2048
	v_add_co_u32_e32 v0, vcc, 0x1000, v8
	v_addc_co_u32_e32 v1, vcc, 0, v1, vcc
	global_store_dwordx2 v[0:1], v[6:7], off
	s_endpgm
	.section	.rodata,"a",@progbits
	.p2align	6, 0x0
	.amdhsa_kernel _Z6kernelI18scatter_to_stripedN15benchmark_utils11custom_typeIffEELj256ELj3ELj100EEvPKT0_PKjPS4_
		.amdhsa_group_segment_fixed_size 6144
		.amdhsa_private_segment_fixed_size 0
		.amdhsa_kernarg_size 24
		.amdhsa_user_sgpr_count 6
		.amdhsa_user_sgpr_private_segment_buffer 1
		.amdhsa_user_sgpr_dispatch_ptr 0
		.amdhsa_user_sgpr_queue_ptr 0
		.amdhsa_user_sgpr_kernarg_segment_ptr 1
		.amdhsa_user_sgpr_dispatch_id 0
		.amdhsa_user_sgpr_flat_scratch_init 0
		.amdhsa_user_sgpr_kernarg_preload_length 0
		.amdhsa_user_sgpr_kernarg_preload_offset 0
		.amdhsa_user_sgpr_private_segment_size 0
		.amdhsa_uses_dynamic_stack 0
		.amdhsa_system_sgpr_private_segment_wavefront_offset 0
		.amdhsa_system_sgpr_workgroup_id_x 1
		.amdhsa_system_sgpr_workgroup_id_y 0
		.amdhsa_system_sgpr_workgroup_id_z 0
		.amdhsa_system_sgpr_workgroup_info 0
		.amdhsa_system_vgpr_workitem_id 0
		.amdhsa_next_free_vgpr 12
		.amdhsa_next_free_sgpr 12
		.amdhsa_accum_offset 12
		.amdhsa_reserve_vcc 1
		.amdhsa_reserve_flat_scratch 0
		.amdhsa_float_round_mode_32 0
		.amdhsa_float_round_mode_16_64 0
		.amdhsa_float_denorm_mode_32 3
		.amdhsa_float_denorm_mode_16_64 3
		.amdhsa_dx10_clamp 1
		.amdhsa_ieee_mode 1
		.amdhsa_fp16_overflow 0
		.amdhsa_tg_split 0
		.amdhsa_exception_fp_ieee_invalid_op 0
		.amdhsa_exception_fp_denorm_src 0
		.amdhsa_exception_fp_ieee_div_zero 0
		.amdhsa_exception_fp_ieee_overflow 0
		.amdhsa_exception_fp_ieee_underflow 0
		.amdhsa_exception_fp_ieee_inexact 0
		.amdhsa_exception_int_div_zero 0
	.end_amdhsa_kernel
	.section	.text._Z6kernelI18scatter_to_stripedN15benchmark_utils11custom_typeIffEELj256ELj3ELj100EEvPKT0_PKjPS4_,"axG",@progbits,_Z6kernelI18scatter_to_stripedN15benchmark_utils11custom_typeIffEELj256ELj3ELj100EEvPKT0_PKjPS4_,comdat
.Lfunc_end170:
	.size	_Z6kernelI18scatter_to_stripedN15benchmark_utils11custom_typeIffEELj256ELj3ELj100EEvPKT0_PKjPS4_, .Lfunc_end170-_Z6kernelI18scatter_to_stripedN15benchmark_utils11custom_typeIffEELj256ELj3ELj100EEvPKT0_PKjPS4_
                                        ; -- End function
	.section	.AMDGPU.csdata,"",@progbits
; Kernel info:
; codeLenInByte = 300
; NumSgprs: 16
; NumVgprs: 12
; NumAgprs: 0
; TotalNumVgprs: 12
; ScratchSize: 0
; MemoryBound: 0
; FloatMode: 240
; IeeeMode: 1
; LDSByteSize: 6144 bytes/workgroup (compile time only)
; SGPRBlocks: 1
; VGPRBlocks: 1
; NumSGPRsForWavesPerEU: 16
; NumVGPRsForWavesPerEU: 12
; AccumOffset: 12
; Occupancy: 8
; WaveLimiterHint : 1
; COMPUTE_PGM_RSRC2:SCRATCH_EN: 0
; COMPUTE_PGM_RSRC2:USER_SGPR: 6
; COMPUTE_PGM_RSRC2:TRAP_HANDLER: 0
; COMPUTE_PGM_RSRC2:TGID_X_EN: 1
; COMPUTE_PGM_RSRC2:TGID_Y_EN: 0
; COMPUTE_PGM_RSRC2:TGID_Z_EN: 0
; COMPUTE_PGM_RSRC2:TIDIG_COMP_CNT: 0
; COMPUTE_PGM_RSRC3_GFX90A:ACCUM_OFFSET: 2
; COMPUTE_PGM_RSRC3_GFX90A:TG_SPLIT: 0
	.section	.text._Z6kernelI18scatter_to_stripedN15benchmark_utils11custom_typeIffEELj256ELj4ELj100EEvPKT0_PKjPS4_,"axG",@progbits,_Z6kernelI18scatter_to_stripedN15benchmark_utils11custom_typeIffEELj256ELj4ELj100EEvPKT0_PKjPS4_,comdat
	.protected	_Z6kernelI18scatter_to_stripedN15benchmark_utils11custom_typeIffEELj256ELj4ELj100EEvPKT0_PKjPS4_ ; -- Begin function _Z6kernelI18scatter_to_stripedN15benchmark_utils11custom_typeIffEELj256ELj4ELj100EEvPKT0_PKjPS4_
	.globl	_Z6kernelI18scatter_to_stripedN15benchmark_utils11custom_typeIffEELj256ELj4ELj100EEvPKT0_PKjPS4_
	.p2align	8
	.type	_Z6kernelI18scatter_to_stripedN15benchmark_utils11custom_typeIffEELj256ELj4ELj100EEvPKT0_PKjPS4_,@function
_Z6kernelI18scatter_to_stripedN15benchmark_utils11custom_typeIffEELj256ELj4ELj100EEvPKT0_PKjPS4_: ; @_Z6kernelI18scatter_to_stripedN15benchmark_utils11custom_typeIffEELj256ELj4ELj100EEvPKT0_PKjPS4_
; %bb.0:
	s_load_dwordx4 s[8:11], s[4:5], 0x0
	s_load_dwordx2 s[0:1], s[4:5], 0x10
	s_lshl_b32 s4, s6, 10
	s_mov_b32 s5, 0
	s_lshl_b64 s[2:3], s[4:5], 3
	s_waitcnt lgkmcnt(0)
	s_add_u32 s6, s8, s2
	s_addc_u32 s7, s9, s3
	v_lshlrev_b32_e32 v1, 3, v0
	v_mov_b32_e32 v2, s7
	v_add_co_u32_e32 v6, vcc, s6, v1
	s_lshl_b64 s[4:5], s[4:5], 2
	v_addc_co_u32_e32 v7, vcc, 0, v2, vcc
	global_load_dwordx2 v[2:3], v1, s[6:7]
	global_load_dwordx2 v[4:5], v1, s[6:7] offset:2048
	s_movk_i32 s6, 0x1000
	s_add_u32 s4, s10, s4
	v_add_co_u32_e32 v10, vcc, s6, v6
	s_addc_u32 s5, s11, s5
	v_lshlrev_b32_e32 v12, 2, v0
	v_addc_co_u32_e32 v11, vcc, 0, v7, vcc
	global_load_dword v13, v12, s[4:5]
	global_load_dword v14, v12, s[4:5] offset:1024
	global_load_dword v15, v12, s[4:5] offset:2048
	global_load_dword v16, v12, s[4:5] offset:3072
	global_load_dwordx2 v[6:7], v[10:11], off
	global_load_dwordx2 v[8:9], v[10:11], off offset:2048
	s_movk_i32 s4, 0x64
	s_waitcnt vmcnt(5)
	v_lshlrev_b32_e32 v10, 3, v13
	s_waitcnt vmcnt(4)
	v_lshlrev_b32_e32 v11, 3, v14
	;; [unrolled: 2-line block ×4, first 2 shown]
.LBB171_1:                              ; =>This Inner Loop Header: Depth=1
	ds_write_b64 v10, v[2:3]
	ds_write_b64 v11, v[4:5]
	s_waitcnt vmcnt(1)
	ds_write_b64 v12, v[6:7]
	s_waitcnt vmcnt(0)
	ds_write_b64 v13, v[8:9]
	s_waitcnt lgkmcnt(0)
	s_barrier
	ds_read2st64_b64 v[2:5], v1 offset1:4
	ds_read2st64_b64 v[6:9], v1 offset0:8 offset1:12
	s_add_i32 s4, s4, -1
	s_cmp_lg_u32 s4, 0
	s_waitcnt lgkmcnt(0)
	s_barrier
	s_cbranch_scc1 .LBB171_1
; %bb.2:
	s_add_u32 s0, s0, s2
	s_addc_u32 s1, s1, s3
	v_lshlrev_b32_e32 v0, 3, v0
	v_mov_b32_e32 v1, s1
	v_add_co_u32_e32 v10, vcc, s0, v0
	v_addc_co_u32_e32 v1, vcc, 0, v1, vcc
	global_store_dwordx2 v0, v[2:3], s[0:1]
	global_store_dwordx2 v0, v[4:5], s[0:1] offset:2048
	v_add_co_u32_e32 v0, vcc, 0x1000, v10
	v_addc_co_u32_e32 v1, vcc, 0, v1, vcc
	global_store_dwordx2 v[0:1], v[6:7], off
	global_store_dwordx2 v[0:1], v[8:9], off offset:2048
	s_endpgm
	.section	.rodata,"a",@progbits
	.p2align	6, 0x0
	.amdhsa_kernel _Z6kernelI18scatter_to_stripedN15benchmark_utils11custom_typeIffEELj256ELj4ELj100EEvPKT0_PKjPS4_
		.amdhsa_group_segment_fixed_size 8448
		.amdhsa_private_segment_fixed_size 0
		.amdhsa_kernarg_size 24
		.amdhsa_user_sgpr_count 6
		.amdhsa_user_sgpr_private_segment_buffer 1
		.amdhsa_user_sgpr_dispatch_ptr 0
		.amdhsa_user_sgpr_queue_ptr 0
		.amdhsa_user_sgpr_kernarg_segment_ptr 1
		.amdhsa_user_sgpr_dispatch_id 0
		.amdhsa_user_sgpr_flat_scratch_init 0
		.amdhsa_user_sgpr_kernarg_preload_length 0
		.amdhsa_user_sgpr_kernarg_preload_offset 0
		.amdhsa_user_sgpr_private_segment_size 0
		.amdhsa_uses_dynamic_stack 0
		.amdhsa_system_sgpr_private_segment_wavefront_offset 0
		.amdhsa_system_sgpr_workgroup_id_x 1
		.amdhsa_system_sgpr_workgroup_id_y 0
		.amdhsa_system_sgpr_workgroup_id_z 0
		.amdhsa_system_sgpr_workgroup_info 0
		.amdhsa_system_vgpr_workitem_id 0
		.amdhsa_next_free_vgpr 17
		.amdhsa_next_free_sgpr 12
		.amdhsa_accum_offset 20
		.amdhsa_reserve_vcc 1
		.amdhsa_reserve_flat_scratch 0
		.amdhsa_float_round_mode_32 0
		.amdhsa_float_round_mode_16_64 0
		.amdhsa_float_denorm_mode_32 3
		.amdhsa_float_denorm_mode_16_64 3
		.amdhsa_dx10_clamp 1
		.amdhsa_ieee_mode 1
		.amdhsa_fp16_overflow 0
		.amdhsa_tg_split 0
		.amdhsa_exception_fp_ieee_invalid_op 0
		.amdhsa_exception_fp_denorm_src 0
		.amdhsa_exception_fp_ieee_div_zero 0
		.amdhsa_exception_fp_ieee_overflow 0
		.amdhsa_exception_fp_ieee_underflow 0
		.amdhsa_exception_fp_ieee_inexact 0
		.amdhsa_exception_int_div_zero 0
	.end_amdhsa_kernel
	.section	.text._Z6kernelI18scatter_to_stripedN15benchmark_utils11custom_typeIffEELj256ELj4ELj100EEvPKT0_PKjPS4_,"axG",@progbits,_Z6kernelI18scatter_to_stripedN15benchmark_utils11custom_typeIffEELj256ELj4ELj100EEvPKT0_PKjPS4_,comdat
.Lfunc_end171:
	.size	_Z6kernelI18scatter_to_stripedN15benchmark_utils11custom_typeIffEELj256ELj4ELj100EEvPKT0_PKjPS4_, .Lfunc_end171-_Z6kernelI18scatter_to_stripedN15benchmark_utils11custom_typeIffEELj256ELj4ELj100EEvPKT0_PKjPS4_
                                        ; -- End function
	.section	.AMDGPU.csdata,"",@progbits
; Kernel info:
; codeLenInByte = 340
; NumSgprs: 16
; NumVgprs: 17
; NumAgprs: 0
; TotalNumVgprs: 17
; ScratchSize: 0
; MemoryBound: 1
; FloatMode: 240
; IeeeMode: 1
; LDSByteSize: 8448 bytes/workgroup (compile time only)
; SGPRBlocks: 1
; VGPRBlocks: 2
; NumSGPRsForWavesPerEU: 16
; NumVGPRsForWavesPerEU: 17
; AccumOffset: 20
; Occupancy: 7
; WaveLimiterHint : 1
; COMPUTE_PGM_RSRC2:SCRATCH_EN: 0
; COMPUTE_PGM_RSRC2:USER_SGPR: 6
; COMPUTE_PGM_RSRC2:TRAP_HANDLER: 0
; COMPUTE_PGM_RSRC2:TGID_X_EN: 1
; COMPUTE_PGM_RSRC2:TGID_Y_EN: 0
; COMPUTE_PGM_RSRC2:TGID_Z_EN: 0
; COMPUTE_PGM_RSRC2:TIDIG_COMP_CNT: 0
; COMPUTE_PGM_RSRC3_GFX90A:ACCUM_OFFSET: 4
; COMPUTE_PGM_RSRC3_GFX90A:TG_SPLIT: 0
	.section	.text._Z6kernelI18scatter_to_stripedN15benchmark_utils11custom_typeIffEELj256ELj7ELj100EEvPKT0_PKjPS4_,"axG",@progbits,_Z6kernelI18scatter_to_stripedN15benchmark_utils11custom_typeIffEELj256ELj7ELj100EEvPKT0_PKjPS4_,comdat
	.protected	_Z6kernelI18scatter_to_stripedN15benchmark_utils11custom_typeIffEELj256ELj7ELj100EEvPKT0_PKjPS4_ ; -- Begin function _Z6kernelI18scatter_to_stripedN15benchmark_utils11custom_typeIffEELj256ELj7ELj100EEvPKT0_PKjPS4_
	.globl	_Z6kernelI18scatter_to_stripedN15benchmark_utils11custom_typeIffEELj256ELj7ELj100EEvPKT0_PKjPS4_
	.p2align	8
	.type	_Z6kernelI18scatter_to_stripedN15benchmark_utils11custom_typeIffEELj256ELj7ELj100EEvPKT0_PKjPS4_,@function
_Z6kernelI18scatter_to_stripedN15benchmark_utils11custom_typeIffEELj256ELj7ELj100EEvPKT0_PKjPS4_: ; @_Z6kernelI18scatter_to_stripedN15benchmark_utils11custom_typeIffEELj256ELj7ELj100EEvPKT0_PKjPS4_
; %bb.0:
	s_load_dwordx4 s[0:3], s[4:5], 0x0
	s_load_dwordx2 s[8:9], s[4:5], 0x10
	s_mulk_i32 s6, 0x700
	s_mov_b32 s7, 0
	s_lshl_b64 s[4:5], s[6:7], 3
	s_waitcnt lgkmcnt(0)
	s_add_u32 s0, s0, s4
	s_addc_u32 s1, s1, s5
	v_lshlrev_b32_e32 v1, 3, v0
	v_mov_b32_e32 v2, s1
	v_add_co_u32_e32 v14, vcc, s0, v1
	v_addc_co_u32_e32 v15, vcc, 0, v2, vcc
	global_load_dwordx2 v[2:3], v1, s[0:1]
	global_load_dwordx2 v[4:5], v1, s[0:1] offset:2048
	s_movk_i32 s0, 0x1000
	v_add_co_u32_e32 v16, vcc, s0, v14
	v_addc_co_u32_e32 v17, vcc, 0, v15, vcc
	s_movk_i32 s0, 0x2000
	v_add_co_u32_e32 v12, vcc, s0, v14
	v_addc_co_u32_e32 v13, vcc, 0, v15, vcc
	s_movk_i32 s0, 0x3000
	v_add_co_u32_e32 v18, vcc, s0, v14
	s_lshl_b64 s[0:1], s[6:7], 2
	s_add_u32 s0, s2, s0
	v_addc_co_u32_e32 v19, vcc, 0, v15, vcc
	s_addc_u32 s1, s3, s1
	v_lshlrev_b32_e32 v22, 2, v0
	global_load_dwordx2 v[10:11], v[12:13], off offset:-4096
	global_load_dwordx2 v[6:7], v[12:13], off
	global_load_dwordx2 v[8:9], v[12:13], off offset:2048
	v_mov_b32_e32 v12, s1
	v_add_co_u32_e32 v13, vcc, s0, v22
	v_addc_co_u32_e32 v12, vcc, 0, v12, vcc
	v_add_co_u32_e32 v20, vcc, 0x1000, v13
	v_addc_co_u32_e32 v21, vcc, 0, v12, vcc
	global_load_dword v23, v22, s[0:1]
	global_load_dword v24, v22, s[0:1] offset:1024
	global_load_dword v25, v22, s[0:1] offset:2048
	;; [unrolled: 1-line block ×3, first 2 shown]
	global_load_dword v27, v[20:21], off
	global_load_dword v28, v[20:21], off offset:1024
	global_load_dword v29, v[20:21], off offset:2048
	global_load_dwordx2 v[12:13], v[16:17], off offset:2048
	global_load_dwordx2 v[14:15], v[18:19], off
	s_movk_i32 s0, 0x64
	s_waitcnt vmcnt(8)
	v_lshlrev_b32_e32 v16, 3, v23
	s_waitcnt vmcnt(7)
	v_lshlrev_b32_e32 v17, 3, v24
	;; [unrolled: 2-line block ×7, first 2 shown]
.LBB172_1:                              ; =>This Inner Loop Header: Depth=1
	ds_write_b64 v16, v[2:3]
	ds_write_b64 v17, v[4:5]
	;; [unrolled: 1-line block ×3, first 2 shown]
	s_waitcnt vmcnt(1)
	ds_write_b64 v19, v[12:13]
	ds_write_b64 v20, v[6:7]
	;; [unrolled: 1-line block ×3, first 2 shown]
	s_waitcnt vmcnt(0)
	ds_write_b64 v22, v[14:15]
	s_waitcnt lgkmcnt(0)
	s_barrier
	ds_read2st64_b64 v[2:5], v1 offset1:4
	ds_read2st64_b64 v[10:13], v1 offset0:8 offset1:12
	ds_read2st64_b64 v[6:9], v1 offset0:16 offset1:20
	ds_read_b64 v[14:15], v1 offset:12288
	s_add_i32 s0, s0, -1
	s_cmp_lg_u32 s0, 0
	s_waitcnt lgkmcnt(0)
	s_barrier
	s_cbranch_scc1 .LBB172_1
; %bb.2:
	s_add_u32 s0, s8, s4
	s_addc_u32 s1, s9, s5
	v_lshlrev_b32_e32 v0, 3, v0
	v_mov_b32_e32 v1, s1
	v_add_co_u32_e32 v16, vcc, s0, v0
	v_addc_co_u32_e32 v17, vcc, 0, v1, vcc
	global_store_dwordx2 v0, v[2:3], s[0:1]
	global_store_dwordx2 v0, v[4:5], s[0:1] offset:2048
	v_add_co_u32_e32 v0, vcc, 0x1000, v16
	v_addc_co_u32_e32 v1, vcc, 0, v17, vcc
	global_store_dwordx2 v[0:1], v[10:11], off
	global_store_dwordx2 v[0:1], v[12:13], off offset:2048
	v_add_co_u32_e32 v0, vcc, 0x2000, v16
	v_addc_co_u32_e32 v1, vcc, 0, v17, vcc
	global_store_dwordx2 v[0:1], v[6:7], off
	global_store_dwordx2 v[0:1], v[8:9], off offset:2048
	v_add_co_u32_e32 v0, vcc, 0x3000, v16
	v_addc_co_u32_e32 v1, vcc, 0, v17, vcc
	global_store_dwordx2 v[0:1], v[14:15], off
	s_endpgm
	.section	.rodata,"a",@progbits
	.p2align	6, 0x0
	.amdhsa_kernel _Z6kernelI18scatter_to_stripedN15benchmark_utils11custom_typeIffEELj256ELj7ELj100EEvPKT0_PKjPS4_
		.amdhsa_group_segment_fixed_size 14336
		.amdhsa_private_segment_fixed_size 0
		.amdhsa_kernarg_size 24
		.amdhsa_user_sgpr_count 6
		.amdhsa_user_sgpr_private_segment_buffer 1
		.amdhsa_user_sgpr_dispatch_ptr 0
		.amdhsa_user_sgpr_queue_ptr 0
		.amdhsa_user_sgpr_kernarg_segment_ptr 1
		.amdhsa_user_sgpr_dispatch_id 0
		.amdhsa_user_sgpr_flat_scratch_init 0
		.amdhsa_user_sgpr_kernarg_preload_length 0
		.amdhsa_user_sgpr_kernarg_preload_offset 0
		.amdhsa_user_sgpr_private_segment_size 0
		.amdhsa_uses_dynamic_stack 0
		.amdhsa_system_sgpr_private_segment_wavefront_offset 0
		.amdhsa_system_sgpr_workgroup_id_x 1
		.amdhsa_system_sgpr_workgroup_id_y 0
		.amdhsa_system_sgpr_workgroup_id_z 0
		.amdhsa_system_sgpr_workgroup_info 0
		.amdhsa_system_vgpr_workitem_id 0
		.amdhsa_next_free_vgpr 30
		.amdhsa_next_free_sgpr 10
		.amdhsa_accum_offset 32
		.amdhsa_reserve_vcc 1
		.amdhsa_reserve_flat_scratch 0
		.amdhsa_float_round_mode_32 0
		.amdhsa_float_round_mode_16_64 0
		.amdhsa_float_denorm_mode_32 3
		.amdhsa_float_denorm_mode_16_64 3
		.amdhsa_dx10_clamp 1
		.amdhsa_ieee_mode 1
		.amdhsa_fp16_overflow 0
		.amdhsa_tg_split 0
		.amdhsa_exception_fp_ieee_invalid_op 0
		.amdhsa_exception_fp_denorm_src 0
		.amdhsa_exception_fp_ieee_div_zero 0
		.amdhsa_exception_fp_ieee_overflow 0
		.amdhsa_exception_fp_ieee_underflow 0
		.amdhsa_exception_fp_ieee_inexact 0
		.amdhsa_exception_int_div_zero 0
	.end_amdhsa_kernel
	.section	.text._Z6kernelI18scatter_to_stripedN15benchmark_utils11custom_typeIffEELj256ELj7ELj100EEvPKT0_PKjPS4_,"axG",@progbits,_Z6kernelI18scatter_to_stripedN15benchmark_utils11custom_typeIffEELj256ELj7ELj100EEvPKT0_PKjPS4_,comdat
.Lfunc_end172:
	.size	_Z6kernelI18scatter_to_stripedN15benchmark_utils11custom_typeIffEELj256ELj7ELj100EEvPKT0_PKjPS4_, .Lfunc_end172-_Z6kernelI18scatter_to_stripedN15benchmark_utils11custom_typeIffEELj256ELj7ELj100EEvPKT0_PKjPS4_
                                        ; -- End function
	.section	.AMDGPU.csdata,"",@progbits
; Kernel info:
; codeLenInByte = 548
; NumSgprs: 14
; NumVgprs: 30
; NumAgprs: 0
; TotalNumVgprs: 30
; ScratchSize: 0
; MemoryBound: 1
; FloatMode: 240
; IeeeMode: 1
; LDSByteSize: 14336 bytes/workgroup (compile time only)
; SGPRBlocks: 1
; VGPRBlocks: 3
; NumSGPRsForWavesPerEU: 14
; NumVGPRsForWavesPerEU: 30
; AccumOffset: 32
; Occupancy: 4
; WaveLimiterHint : 1
; COMPUTE_PGM_RSRC2:SCRATCH_EN: 0
; COMPUTE_PGM_RSRC2:USER_SGPR: 6
; COMPUTE_PGM_RSRC2:TRAP_HANDLER: 0
; COMPUTE_PGM_RSRC2:TGID_X_EN: 1
; COMPUTE_PGM_RSRC2:TGID_Y_EN: 0
; COMPUTE_PGM_RSRC2:TGID_Z_EN: 0
; COMPUTE_PGM_RSRC2:TIDIG_COMP_CNT: 0
; COMPUTE_PGM_RSRC3_GFX90A:ACCUM_OFFSET: 7
; COMPUTE_PGM_RSRC3_GFX90A:TG_SPLIT: 0
	.section	.text._Z6kernelI18scatter_to_stripedN15benchmark_utils11custom_typeIffEELj256ELj8ELj100EEvPKT0_PKjPS4_,"axG",@progbits,_Z6kernelI18scatter_to_stripedN15benchmark_utils11custom_typeIffEELj256ELj8ELj100EEvPKT0_PKjPS4_,comdat
	.protected	_Z6kernelI18scatter_to_stripedN15benchmark_utils11custom_typeIffEELj256ELj8ELj100EEvPKT0_PKjPS4_ ; -- Begin function _Z6kernelI18scatter_to_stripedN15benchmark_utils11custom_typeIffEELj256ELj8ELj100EEvPKT0_PKjPS4_
	.globl	_Z6kernelI18scatter_to_stripedN15benchmark_utils11custom_typeIffEELj256ELj8ELj100EEvPKT0_PKjPS4_
	.p2align	8
	.type	_Z6kernelI18scatter_to_stripedN15benchmark_utils11custom_typeIffEELj256ELj8ELj100EEvPKT0_PKjPS4_,@function
_Z6kernelI18scatter_to_stripedN15benchmark_utils11custom_typeIffEELj256ELj8ELj100EEvPKT0_PKjPS4_: ; @_Z6kernelI18scatter_to_stripedN15benchmark_utils11custom_typeIffEELj256ELj8ELj100EEvPKT0_PKjPS4_
; %bb.0:
	s_load_dwordx4 s[0:3], s[4:5], 0x0
	s_load_dwordx2 s[8:9], s[4:5], 0x10
	s_lshl_b32 s6, s6, 11
	s_mov_b32 s7, 0
	s_lshl_b64 s[4:5], s[6:7], 3
	s_waitcnt lgkmcnt(0)
	s_add_u32 s0, s0, s4
	s_addc_u32 s1, s1, s5
	v_lshlrev_b32_e32 v1, 3, v0
	v_mov_b32_e32 v2, s1
	v_add_co_u32_e32 v14, vcc, s0, v1
	v_addc_co_u32_e32 v15, vcc, 0, v2, vcc
	s_movk_i32 s10, 0x1000
	v_add_co_u32_e32 v18, vcc, s10, v14
	global_load_dwordx2 v[2:3], v1, s[0:1]
	global_load_dwordx2 v[4:5], v1, s[0:1] offset:2048
	v_addc_co_u32_e32 v19, vcc, 0, v15, vcc
	s_movk_i32 s0, 0x2000
	v_add_co_u32_e32 v12, vcc, s0, v14
	v_addc_co_u32_e32 v13, vcc, 0, v15, vcc
	s_movk_i32 s0, 0x3000
	v_add_co_u32_e32 v20, vcc, s0, v14
	s_lshl_b64 s[0:1], s[6:7], 2
	s_add_u32 s0, s2, s0
	v_addc_co_u32_e32 v21, vcc, 0, v15, vcc
	s_addc_u32 s1, s3, s1
	v_lshlrev_b32_e32 v24, 2, v0
	global_load_dwordx2 v[10:11], v[12:13], off offset:-4096
	global_load_dwordx2 v[6:7], v[12:13], off
	global_load_dwordx2 v[8:9], v[12:13], off offset:2048
	v_mov_b32_e32 v12, s1
	v_add_co_u32_e32 v13, vcc, s0, v24
	v_addc_co_u32_e32 v12, vcc, 0, v12, vcc
	v_add_co_u32_e32 v22, vcc, s10, v13
	v_addc_co_u32_e32 v23, vcc, 0, v12, vcc
	global_load_dword v25, v24, s[0:1]
	global_load_dword v26, v24, s[0:1] offset:1024
	global_load_dword v27, v24, s[0:1] offset:2048
	;; [unrolled: 1-line block ×3, first 2 shown]
	global_load_dword v29, v[22:23], off
	global_load_dword v30, v[22:23], off offset:1024
	global_load_dword v31, v[22:23], off offset:2048
	;; [unrolled: 1-line block ×3, first 2 shown]
	global_load_dwordx2 v[12:13], v[18:19], off offset:2048
	global_load_dwordx2 v[14:15], v[20:21], off
	global_load_dwordx2 v[16:17], v[20:21], off offset:2048
	s_movk_i32 s0, 0x64
	s_waitcnt vmcnt(10)
	v_lshlrev_b32_e32 v18, 3, v25
	s_waitcnt vmcnt(9)
	v_lshlrev_b32_e32 v19, 3, v26
	;; [unrolled: 2-line block ×8, first 2 shown]
.LBB173_1:                              ; =>This Inner Loop Header: Depth=1
	ds_write_b64 v18, v[2:3]
	ds_write_b64 v19, v[4:5]
	;; [unrolled: 1-line block ×3, first 2 shown]
	s_waitcnt vmcnt(2)
	ds_write_b64 v21, v[12:13]
	ds_write_b64 v22, v[6:7]
	;; [unrolled: 1-line block ×3, first 2 shown]
	s_waitcnt vmcnt(1)
	ds_write_b64 v24, v[14:15]
	s_waitcnt vmcnt(0)
	ds_write_b64 v25, v[16:17]
	s_waitcnt lgkmcnt(0)
	s_barrier
	ds_read2st64_b64 v[2:5], v1 offset1:4
	ds_read2st64_b64 v[10:13], v1 offset0:8 offset1:12
	ds_read2st64_b64 v[6:9], v1 offset0:16 offset1:20
	;; [unrolled: 1-line block ×3, first 2 shown]
	s_add_i32 s0, s0, -1
	s_cmp_lg_u32 s0, 0
	s_waitcnt lgkmcnt(0)
	s_barrier
	s_cbranch_scc1 .LBB173_1
; %bb.2:
	s_add_u32 s0, s8, s4
	s_addc_u32 s1, s9, s5
	v_lshlrev_b32_e32 v0, 3, v0
	v_mov_b32_e32 v1, s1
	v_add_co_u32_e32 v18, vcc, s0, v0
	v_addc_co_u32_e32 v19, vcc, 0, v1, vcc
	global_store_dwordx2 v0, v[2:3], s[0:1]
	global_store_dwordx2 v0, v[4:5], s[0:1] offset:2048
	v_add_co_u32_e32 v0, vcc, 0x1000, v18
	v_addc_co_u32_e32 v1, vcc, 0, v19, vcc
	global_store_dwordx2 v[0:1], v[10:11], off
	global_store_dwordx2 v[0:1], v[12:13], off offset:2048
	v_add_co_u32_e32 v0, vcc, 0x2000, v18
	v_addc_co_u32_e32 v1, vcc, 0, v19, vcc
	global_store_dwordx2 v[0:1], v[6:7], off
	global_store_dwordx2 v[0:1], v[8:9], off offset:2048
	;; [unrolled: 4-line block ×3, first 2 shown]
	s_endpgm
	.section	.rodata,"a",@progbits
	.p2align	6, 0x0
	.amdhsa_kernel _Z6kernelI18scatter_to_stripedN15benchmark_utils11custom_typeIffEELj256ELj8ELj100EEvPKT0_PKjPS4_
		.amdhsa_group_segment_fixed_size 16896
		.amdhsa_private_segment_fixed_size 0
		.amdhsa_kernarg_size 24
		.amdhsa_user_sgpr_count 6
		.amdhsa_user_sgpr_private_segment_buffer 1
		.amdhsa_user_sgpr_dispatch_ptr 0
		.amdhsa_user_sgpr_queue_ptr 0
		.amdhsa_user_sgpr_kernarg_segment_ptr 1
		.amdhsa_user_sgpr_dispatch_id 0
		.amdhsa_user_sgpr_flat_scratch_init 0
		.amdhsa_user_sgpr_kernarg_preload_length 0
		.amdhsa_user_sgpr_kernarg_preload_offset 0
		.amdhsa_user_sgpr_private_segment_size 0
		.amdhsa_uses_dynamic_stack 0
		.amdhsa_system_sgpr_private_segment_wavefront_offset 0
		.amdhsa_system_sgpr_workgroup_id_x 1
		.amdhsa_system_sgpr_workgroup_id_y 0
		.amdhsa_system_sgpr_workgroup_id_z 0
		.amdhsa_system_sgpr_workgroup_info 0
		.amdhsa_system_vgpr_workitem_id 0
		.amdhsa_next_free_vgpr 33
		.amdhsa_next_free_sgpr 11
		.amdhsa_accum_offset 36
		.amdhsa_reserve_vcc 1
		.amdhsa_reserve_flat_scratch 0
		.amdhsa_float_round_mode_32 0
		.amdhsa_float_round_mode_16_64 0
		.amdhsa_float_denorm_mode_32 3
		.amdhsa_float_denorm_mode_16_64 3
		.amdhsa_dx10_clamp 1
		.amdhsa_ieee_mode 1
		.amdhsa_fp16_overflow 0
		.amdhsa_tg_split 0
		.amdhsa_exception_fp_ieee_invalid_op 0
		.amdhsa_exception_fp_denorm_src 0
		.amdhsa_exception_fp_ieee_div_zero 0
		.amdhsa_exception_fp_ieee_overflow 0
		.amdhsa_exception_fp_ieee_underflow 0
		.amdhsa_exception_fp_ieee_inexact 0
		.amdhsa_exception_int_div_zero 0
	.end_amdhsa_kernel
	.section	.text._Z6kernelI18scatter_to_stripedN15benchmark_utils11custom_typeIffEELj256ELj8ELj100EEvPKT0_PKjPS4_,"axG",@progbits,_Z6kernelI18scatter_to_stripedN15benchmark_utils11custom_typeIffEELj256ELj8ELj100EEvPKT0_PKjPS4_,comdat
.Lfunc_end173:
	.size	_Z6kernelI18scatter_to_stripedN15benchmark_utils11custom_typeIffEELj256ELj8ELj100EEvPKT0_PKjPS4_, .Lfunc_end173-_Z6kernelI18scatter_to_stripedN15benchmark_utils11custom_typeIffEELj256ELj8ELj100EEvPKT0_PKjPS4_
                                        ; -- End function
	.section	.AMDGPU.csdata,"",@progbits
; Kernel info:
; codeLenInByte = 588
; NumSgprs: 15
; NumVgprs: 33
; NumAgprs: 0
; TotalNumVgprs: 33
; ScratchSize: 0
; MemoryBound: 1
; FloatMode: 240
; IeeeMode: 1
; LDSByteSize: 16896 bytes/workgroup (compile time only)
; SGPRBlocks: 1
; VGPRBlocks: 4
; NumSGPRsForWavesPerEU: 15
; NumVGPRsForWavesPerEU: 33
; AccumOffset: 36
; Occupancy: 3
; WaveLimiterHint : 1
; COMPUTE_PGM_RSRC2:SCRATCH_EN: 0
; COMPUTE_PGM_RSRC2:USER_SGPR: 6
; COMPUTE_PGM_RSRC2:TRAP_HANDLER: 0
; COMPUTE_PGM_RSRC2:TGID_X_EN: 1
; COMPUTE_PGM_RSRC2:TGID_Y_EN: 0
; COMPUTE_PGM_RSRC2:TGID_Z_EN: 0
; COMPUTE_PGM_RSRC2:TIDIG_COMP_CNT: 0
; COMPUTE_PGM_RSRC3_GFX90A:ACCUM_OFFSET: 8
; COMPUTE_PGM_RSRC3_GFX90A:TG_SPLIT: 0
	.section	.text._Z6kernelI18scatter_to_stripedN15benchmark_utils11custom_typeIddEELj256ELj1ELj100EEvPKT0_PKjPS4_,"axG",@progbits,_Z6kernelI18scatter_to_stripedN15benchmark_utils11custom_typeIddEELj256ELj1ELj100EEvPKT0_PKjPS4_,comdat
	.protected	_Z6kernelI18scatter_to_stripedN15benchmark_utils11custom_typeIddEELj256ELj1ELj100EEvPKT0_PKjPS4_ ; -- Begin function _Z6kernelI18scatter_to_stripedN15benchmark_utils11custom_typeIddEELj256ELj1ELj100EEvPKT0_PKjPS4_
	.globl	_Z6kernelI18scatter_to_stripedN15benchmark_utils11custom_typeIddEELj256ELj1ELj100EEvPKT0_PKjPS4_
	.p2align	8
	.type	_Z6kernelI18scatter_to_stripedN15benchmark_utils11custom_typeIddEELj256ELj1ELj100EEvPKT0_PKjPS4_,@function
_Z6kernelI18scatter_to_stripedN15benchmark_utils11custom_typeIddEELj256ELj1ELj100EEvPKT0_PKjPS4_: ; @_Z6kernelI18scatter_to_stripedN15benchmark_utils11custom_typeIddEELj256ELj1ELj100EEvPKT0_PKjPS4_
; %bb.0:
	s_load_dwordx4 s[8:11], s[4:5], 0x0
	s_load_dwordx2 s[0:1], s[4:5], 0x10
	s_lshl_b32 s4, s6, 8
	s_mov_b32 s5, 0
	s_lshl_b64 s[2:3], s[4:5], 4
	s_waitcnt lgkmcnt(0)
	s_add_u32 s6, s8, s2
	s_addc_u32 s7, s9, s3
	s_lshl_b64 s[4:5], s[4:5], 2
	s_add_u32 s4, s10, s4
	s_addc_u32 s5, s11, s5
	v_lshlrev_b32_e32 v1, 2, v0
	global_load_dword v6, v1, s[4:5]
	v_lshlrev_b32_e32 v1, 4, v0
	global_load_dwordx4 v[2:5], v1, s[6:7]
	s_movk_i32 s4, 0x64
	s_waitcnt vmcnt(1)
	v_lshlrev_b32_e32 v6, 4, v6
.LBB174_1:                              ; =>This Inner Loop Header: Depth=1
	s_waitcnt vmcnt(0)
	ds_write_b128 v6, v[2:5]
	s_waitcnt lgkmcnt(0)
	s_barrier
	ds_read_b128 v[2:5], v1
	s_add_i32 s4, s4, -1
	s_cmp_lg_u32 s4, 0
	s_waitcnt lgkmcnt(0)
	s_barrier
	s_cbranch_scc1 .LBB174_1
; %bb.2:
	s_add_u32 s0, s0, s2
	s_addc_u32 s1, s1, s3
	v_lshlrev_b32_e32 v0, 4, v0
	global_store_dwordx4 v0, v[2:5], s[0:1]
	s_endpgm
	.section	.rodata,"a",@progbits
	.p2align	6, 0x0
	.amdhsa_kernel _Z6kernelI18scatter_to_stripedN15benchmark_utils11custom_typeIddEELj256ELj1ELj100EEvPKT0_PKjPS4_
		.amdhsa_group_segment_fixed_size 4096
		.amdhsa_private_segment_fixed_size 0
		.amdhsa_kernarg_size 24
		.amdhsa_user_sgpr_count 6
		.amdhsa_user_sgpr_private_segment_buffer 1
		.amdhsa_user_sgpr_dispatch_ptr 0
		.amdhsa_user_sgpr_queue_ptr 0
		.amdhsa_user_sgpr_kernarg_segment_ptr 1
		.amdhsa_user_sgpr_dispatch_id 0
		.amdhsa_user_sgpr_flat_scratch_init 0
		.amdhsa_user_sgpr_kernarg_preload_length 0
		.amdhsa_user_sgpr_kernarg_preload_offset 0
		.amdhsa_user_sgpr_private_segment_size 0
		.amdhsa_uses_dynamic_stack 0
		.amdhsa_system_sgpr_private_segment_wavefront_offset 0
		.amdhsa_system_sgpr_workgroup_id_x 1
		.amdhsa_system_sgpr_workgroup_id_y 0
		.amdhsa_system_sgpr_workgroup_id_z 0
		.amdhsa_system_sgpr_workgroup_info 0
		.amdhsa_system_vgpr_workitem_id 0
		.amdhsa_next_free_vgpr 7
		.amdhsa_next_free_sgpr 12
		.amdhsa_accum_offset 8
		.amdhsa_reserve_vcc 0
		.amdhsa_reserve_flat_scratch 0
		.amdhsa_float_round_mode_32 0
		.amdhsa_float_round_mode_16_64 0
		.amdhsa_float_denorm_mode_32 3
		.amdhsa_float_denorm_mode_16_64 3
		.amdhsa_dx10_clamp 1
		.amdhsa_ieee_mode 1
		.amdhsa_fp16_overflow 0
		.amdhsa_tg_split 0
		.amdhsa_exception_fp_ieee_invalid_op 0
		.amdhsa_exception_fp_denorm_src 0
		.amdhsa_exception_fp_ieee_div_zero 0
		.amdhsa_exception_fp_ieee_overflow 0
		.amdhsa_exception_fp_ieee_underflow 0
		.amdhsa_exception_fp_ieee_inexact 0
		.amdhsa_exception_int_div_zero 0
	.end_amdhsa_kernel
	.section	.text._Z6kernelI18scatter_to_stripedN15benchmark_utils11custom_typeIddEELj256ELj1ELj100EEvPKT0_PKjPS4_,"axG",@progbits,_Z6kernelI18scatter_to_stripedN15benchmark_utils11custom_typeIddEELj256ELj1ELj100EEvPKT0_PKjPS4_,comdat
.Lfunc_end174:
	.size	_Z6kernelI18scatter_to_stripedN15benchmark_utils11custom_typeIddEELj256ELj1ELj100EEvPKT0_PKjPS4_, .Lfunc_end174-_Z6kernelI18scatter_to_stripedN15benchmark_utils11custom_typeIddEELj256ELj1ELj100EEvPKT0_PKjPS4_
                                        ; -- End function
	.section	.AMDGPU.csdata,"",@progbits
; Kernel info:
; codeLenInByte = 160
; NumSgprs: 16
; NumVgprs: 7
; NumAgprs: 0
; TotalNumVgprs: 7
; ScratchSize: 0
; MemoryBound: 0
; FloatMode: 240
; IeeeMode: 1
; LDSByteSize: 4096 bytes/workgroup (compile time only)
; SGPRBlocks: 1
; VGPRBlocks: 0
; NumSGPRsForWavesPerEU: 16
; NumVGPRsForWavesPerEU: 7
; AccumOffset: 8
; Occupancy: 8
; WaveLimiterHint : 0
; COMPUTE_PGM_RSRC2:SCRATCH_EN: 0
; COMPUTE_PGM_RSRC2:USER_SGPR: 6
; COMPUTE_PGM_RSRC2:TRAP_HANDLER: 0
; COMPUTE_PGM_RSRC2:TGID_X_EN: 1
; COMPUTE_PGM_RSRC2:TGID_Y_EN: 0
; COMPUTE_PGM_RSRC2:TGID_Z_EN: 0
; COMPUTE_PGM_RSRC2:TIDIG_COMP_CNT: 0
; COMPUTE_PGM_RSRC3_GFX90A:ACCUM_OFFSET: 1
; COMPUTE_PGM_RSRC3_GFX90A:TG_SPLIT: 0
	.section	.text._Z6kernelI18scatter_to_stripedN15benchmark_utils11custom_typeIddEELj256ELj2ELj100EEvPKT0_PKjPS4_,"axG",@progbits,_Z6kernelI18scatter_to_stripedN15benchmark_utils11custom_typeIddEELj256ELj2ELj100EEvPKT0_PKjPS4_,comdat
	.protected	_Z6kernelI18scatter_to_stripedN15benchmark_utils11custom_typeIddEELj256ELj2ELj100EEvPKT0_PKjPS4_ ; -- Begin function _Z6kernelI18scatter_to_stripedN15benchmark_utils11custom_typeIddEELj256ELj2ELj100EEvPKT0_PKjPS4_
	.globl	_Z6kernelI18scatter_to_stripedN15benchmark_utils11custom_typeIddEELj256ELj2ELj100EEvPKT0_PKjPS4_
	.p2align	8
	.type	_Z6kernelI18scatter_to_stripedN15benchmark_utils11custom_typeIddEELj256ELj2ELj100EEvPKT0_PKjPS4_,@function
_Z6kernelI18scatter_to_stripedN15benchmark_utils11custom_typeIddEELj256ELj2ELj100EEvPKT0_PKjPS4_: ; @_Z6kernelI18scatter_to_stripedN15benchmark_utils11custom_typeIddEELj256ELj2ELj100EEvPKT0_PKjPS4_
; %bb.0:
	s_load_dwordx4 s[0:3], s[4:5], 0x0
	s_load_dwordx2 s[8:9], s[4:5], 0x10
	s_lshl_b32 s6, s6, 9
	s_mov_b32 s7, 0
	s_lshl_b64 s[4:5], s[6:7], 4
	s_waitcnt lgkmcnt(0)
	s_add_u32 s0, s0, s4
	s_addc_u32 s1, s1, s5
	v_lshlrev_b32_e32 v1, 4, v0
	v_mov_b32_e32 v2, s1
	v_add_co_u32_e32 v6, vcc, s0, v1
	v_addc_co_u32_e32 v7, vcc, 0, v2, vcc
	global_load_dwordx4 v[2:5], v1, s[0:1]
	s_lshl_b64 s[0:1], s[6:7], 2
	s_movk_i32 s10, 0x1000
	s_add_u32 s0, s2, s0
	s_addc_u32 s1, s3, s1
	v_lshlrev_b32_e32 v8, 2, v0
	v_add_co_u32_e32 v6, vcc, s10, v6
	global_load_dword v10, v8, s[0:1]
	global_load_dword v11, v8, s[0:1] offset:1024
	v_addc_co_u32_e32 v7, vcc, 0, v7, vcc
	global_load_dwordx4 v[6:9], v[6:7], off
	s_movk_i32 s0, 0x64
	s_waitcnt vmcnt(2)
	v_lshlrev_b32_e32 v10, 4, v10
	s_waitcnt vmcnt(1)
	v_lshlrev_b32_e32 v11, 4, v11
.LBB175_1:                              ; =>This Inner Loop Header: Depth=1
	ds_write_b128 v10, v[2:5]
	s_waitcnt vmcnt(0)
	ds_write_b128 v11, v[6:9]
	s_waitcnt lgkmcnt(0)
	s_barrier
	ds_read_b128 v[2:5], v1
	ds_read_b128 v[6:9], v1 offset:4096
	s_add_i32 s0, s0, -1
	s_cmp_lg_u32 s0, 0
	s_waitcnt lgkmcnt(0)
	s_barrier
	s_cbranch_scc1 .LBB175_1
; %bb.2:
	s_add_u32 s0, s8, s4
	s_addc_u32 s1, s9, s5
	v_lshlrev_b32_e32 v0, 4, v0
	v_mov_b32_e32 v1, s1
	v_add_co_u32_e32 v10, vcc, s0, v0
	v_addc_co_u32_e32 v1, vcc, 0, v1, vcc
	global_store_dwordx4 v0, v[2:5], s[0:1]
	v_add_co_u32_e32 v0, vcc, 0x1000, v10
	v_addc_co_u32_e32 v1, vcc, 0, v1, vcc
	global_store_dwordx4 v[0:1], v[6:9], off
	s_endpgm
	.section	.rodata,"a",@progbits
	.p2align	6, 0x0
	.amdhsa_kernel _Z6kernelI18scatter_to_stripedN15benchmark_utils11custom_typeIddEELj256ELj2ELj100EEvPKT0_PKjPS4_
		.amdhsa_group_segment_fixed_size 8448
		.amdhsa_private_segment_fixed_size 0
		.amdhsa_kernarg_size 24
		.amdhsa_user_sgpr_count 6
		.amdhsa_user_sgpr_private_segment_buffer 1
		.amdhsa_user_sgpr_dispatch_ptr 0
		.amdhsa_user_sgpr_queue_ptr 0
		.amdhsa_user_sgpr_kernarg_segment_ptr 1
		.amdhsa_user_sgpr_dispatch_id 0
		.amdhsa_user_sgpr_flat_scratch_init 0
		.amdhsa_user_sgpr_kernarg_preload_length 0
		.amdhsa_user_sgpr_kernarg_preload_offset 0
		.amdhsa_user_sgpr_private_segment_size 0
		.amdhsa_uses_dynamic_stack 0
		.amdhsa_system_sgpr_private_segment_wavefront_offset 0
		.amdhsa_system_sgpr_workgroup_id_x 1
		.amdhsa_system_sgpr_workgroup_id_y 0
		.amdhsa_system_sgpr_workgroup_id_z 0
		.amdhsa_system_sgpr_workgroup_info 0
		.amdhsa_system_vgpr_workitem_id 0
		.amdhsa_next_free_vgpr 12
		.amdhsa_next_free_sgpr 11
		.amdhsa_accum_offset 12
		.amdhsa_reserve_vcc 1
		.amdhsa_reserve_flat_scratch 0
		.amdhsa_float_round_mode_32 0
		.amdhsa_float_round_mode_16_64 0
		.amdhsa_float_denorm_mode_32 3
		.amdhsa_float_denorm_mode_16_64 3
		.amdhsa_dx10_clamp 1
		.amdhsa_ieee_mode 1
		.amdhsa_fp16_overflow 0
		.amdhsa_tg_split 0
		.amdhsa_exception_fp_ieee_invalid_op 0
		.amdhsa_exception_fp_denorm_src 0
		.amdhsa_exception_fp_ieee_div_zero 0
		.amdhsa_exception_fp_ieee_overflow 0
		.amdhsa_exception_fp_ieee_underflow 0
		.amdhsa_exception_fp_ieee_inexact 0
		.amdhsa_exception_int_div_zero 0
	.end_amdhsa_kernel
	.section	.text._Z6kernelI18scatter_to_stripedN15benchmark_utils11custom_typeIddEELj256ELj2ELj100EEvPKT0_PKjPS4_,"axG",@progbits,_Z6kernelI18scatter_to_stripedN15benchmark_utils11custom_typeIddEELj256ELj2ELj100EEvPKT0_PKjPS4_,comdat
.Lfunc_end175:
	.size	_Z6kernelI18scatter_to_stripedN15benchmark_utils11custom_typeIddEELj256ELj2ELj100EEvPKT0_PKjPS4_, .Lfunc_end175-_Z6kernelI18scatter_to_stripedN15benchmark_utils11custom_typeIddEELj256ELj2ELj100EEvPKT0_PKjPS4_
                                        ; -- End function
	.section	.AMDGPU.csdata,"",@progbits
; Kernel info:
; codeLenInByte = 256
; NumSgprs: 15
; NumVgprs: 12
; NumAgprs: 0
; TotalNumVgprs: 12
; ScratchSize: 0
; MemoryBound: 0
; FloatMode: 240
; IeeeMode: 1
; LDSByteSize: 8448 bytes/workgroup (compile time only)
; SGPRBlocks: 1
; VGPRBlocks: 1
; NumSGPRsForWavesPerEU: 15
; NumVGPRsForWavesPerEU: 12
; AccumOffset: 12
; Occupancy: 7
; WaveLimiterHint : 1
; COMPUTE_PGM_RSRC2:SCRATCH_EN: 0
; COMPUTE_PGM_RSRC2:USER_SGPR: 6
; COMPUTE_PGM_RSRC2:TRAP_HANDLER: 0
; COMPUTE_PGM_RSRC2:TGID_X_EN: 1
; COMPUTE_PGM_RSRC2:TGID_Y_EN: 0
; COMPUTE_PGM_RSRC2:TGID_Z_EN: 0
; COMPUTE_PGM_RSRC2:TIDIG_COMP_CNT: 0
; COMPUTE_PGM_RSRC3_GFX90A:ACCUM_OFFSET: 2
; COMPUTE_PGM_RSRC3_GFX90A:TG_SPLIT: 0
	.section	.text._Z6kernelI18scatter_to_stripedN15benchmark_utils11custom_typeIddEELj256ELj3ELj100EEvPKT0_PKjPS4_,"axG",@progbits,_Z6kernelI18scatter_to_stripedN15benchmark_utils11custom_typeIddEELj256ELj3ELj100EEvPKT0_PKjPS4_,comdat
	.protected	_Z6kernelI18scatter_to_stripedN15benchmark_utils11custom_typeIddEELj256ELj3ELj100EEvPKT0_PKjPS4_ ; -- Begin function _Z6kernelI18scatter_to_stripedN15benchmark_utils11custom_typeIddEELj256ELj3ELj100EEvPKT0_PKjPS4_
	.globl	_Z6kernelI18scatter_to_stripedN15benchmark_utils11custom_typeIddEELj256ELj3ELj100EEvPKT0_PKjPS4_
	.p2align	8
	.type	_Z6kernelI18scatter_to_stripedN15benchmark_utils11custom_typeIddEELj256ELj3ELj100EEvPKT0_PKjPS4_,@function
_Z6kernelI18scatter_to_stripedN15benchmark_utils11custom_typeIddEELj256ELj3ELj100EEvPKT0_PKjPS4_: ; @_Z6kernelI18scatter_to_stripedN15benchmark_utils11custom_typeIddEELj256ELj3ELj100EEvPKT0_PKjPS4_
; %bb.0:
	s_load_dwordx4 s[0:3], s[4:5], 0x0
	s_load_dwordx2 s[8:9], s[4:5], 0x10
	s_mulk_i32 s6, 0x300
	s_mov_b32 s7, 0
	s_lshl_b64 s[4:5], s[6:7], 4
	s_waitcnt lgkmcnt(0)
	s_add_u32 s0, s0, s4
	s_addc_u32 s1, s1, s5
	v_lshlrev_b32_e32 v1, 4, v0
	v_mov_b32_e32 v2, s1
	v_add_co_u32_e32 v6, vcc, s0, v1
	v_addc_co_u32_e32 v7, vcc, 0, v2, vcc
	global_load_dwordx4 v[2:5], v1, s[0:1]
	s_movk_i32 s0, 0x2000
	v_add_co_u32_e32 v14, vcc, s0, v6
	s_lshl_b64 s[0:1], s[6:7], 2
	s_add_u32 s0, s2, s0
	s_addc_u32 s1, s3, s1
	v_lshlrev_b32_e32 v16, 2, v0
	v_addc_co_u32_e32 v15, vcc, 0, v7, vcc
	global_load_dword v17, v16, s[0:1]
	global_load_dword v18, v16, s[0:1] offset:1024
	global_load_dword v19, v16, s[0:1] offset:2048
	global_load_dwordx4 v[10:13], v[14:15], off offset:-4096
	global_load_dwordx4 v[6:9], v[14:15], off
	s_movk_i32 s0, 0x64
	s_waitcnt vmcnt(4)
	v_lshlrev_b32_e32 v14, 4, v17
	s_waitcnt vmcnt(3)
	v_lshlrev_b32_e32 v15, 4, v18
	;; [unrolled: 2-line block ×3, first 2 shown]
.LBB176_1:                              ; =>This Inner Loop Header: Depth=1
	ds_write_b128 v14, v[2:5]
	s_waitcnt vmcnt(1)
	ds_write_b128 v15, v[10:13]
	s_waitcnt vmcnt(0)
	ds_write_b128 v16, v[6:9]
	s_waitcnt lgkmcnt(0)
	s_barrier
	ds_read_b128 v[2:5], v1
	ds_read_b128 v[10:13], v1 offset:4096
	ds_read_b128 v[6:9], v1 offset:8192
	s_add_i32 s0, s0, -1
	s_cmp_lg_u32 s0, 0
	s_waitcnt lgkmcnt(0)
	s_barrier
	s_cbranch_scc1 .LBB176_1
; %bb.2:
	s_add_u32 s0, s8, s4
	s_addc_u32 s1, s9, s5
	v_lshlrev_b32_e32 v0, 4, v0
	v_mov_b32_e32 v1, s1
	v_add_co_u32_e32 v14, vcc, s0, v0
	v_addc_co_u32_e32 v15, vcc, 0, v1, vcc
	global_store_dwordx4 v0, v[2:5], s[0:1]
	v_add_co_u32_e32 v0, vcc, 0x1000, v14
	v_addc_co_u32_e32 v1, vcc, 0, v15, vcc
	global_store_dwordx4 v[0:1], v[10:13], off
	v_add_co_u32_e32 v0, vcc, 0x2000, v14
	v_addc_co_u32_e32 v1, vcc, 0, v15, vcc
	global_store_dwordx4 v[0:1], v[6:9], off
	s_endpgm
	.section	.rodata,"a",@progbits
	.p2align	6, 0x0
	.amdhsa_kernel _Z6kernelI18scatter_to_stripedN15benchmark_utils11custom_typeIddEELj256ELj3ELj100EEvPKT0_PKjPS4_
		.amdhsa_group_segment_fixed_size 12288
		.amdhsa_private_segment_fixed_size 0
		.amdhsa_kernarg_size 24
		.amdhsa_user_sgpr_count 6
		.amdhsa_user_sgpr_private_segment_buffer 1
		.amdhsa_user_sgpr_dispatch_ptr 0
		.amdhsa_user_sgpr_queue_ptr 0
		.amdhsa_user_sgpr_kernarg_segment_ptr 1
		.amdhsa_user_sgpr_dispatch_id 0
		.amdhsa_user_sgpr_flat_scratch_init 0
		.amdhsa_user_sgpr_kernarg_preload_length 0
		.amdhsa_user_sgpr_kernarg_preload_offset 0
		.amdhsa_user_sgpr_private_segment_size 0
		.amdhsa_uses_dynamic_stack 0
		.amdhsa_system_sgpr_private_segment_wavefront_offset 0
		.amdhsa_system_sgpr_workgroup_id_x 1
		.amdhsa_system_sgpr_workgroup_id_y 0
		.amdhsa_system_sgpr_workgroup_id_z 0
		.amdhsa_system_sgpr_workgroup_info 0
		.amdhsa_system_vgpr_workitem_id 0
		.amdhsa_next_free_vgpr 20
		.amdhsa_next_free_sgpr 10
		.amdhsa_accum_offset 20
		.amdhsa_reserve_vcc 1
		.amdhsa_reserve_flat_scratch 0
		.amdhsa_float_round_mode_32 0
		.amdhsa_float_round_mode_16_64 0
		.amdhsa_float_denorm_mode_32 3
		.amdhsa_float_denorm_mode_16_64 3
		.amdhsa_dx10_clamp 1
		.amdhsa_ieee_mode 1
		.amdhsa_fp16_overflow 0
		.amdhsa_tg_split 0
		.amdhsa_exception_fp_ieee_invalid_op 0
		.amdhsa_exception_fp_denorm_src 0
		.amdhsa_exception_fp_ieee_div_zero 0
		.amdhsa_exception_fp_ieee_overflow 0
		.amdhsa_exception_fp_ieee_underflow 0
		.amdhsa_exception_fp_ieee_inexact 0
		.amdhsa_exception_int_div_zero 0
	.end_amdhsa_kernel
	.section	.text._Z6kernelI18scatter_to_stripedN15benchmark_utils11custom_typeIddEELj256ELj3ELj100EEvPKT0_PKjPS4_,"axG",@progbits,_Z6kernelI18scatter_to_stripedN15benchmark_utils11custom_typeIddEELj256ELj3ELj100EEvPKT0_PKjPS4_,comdat
.Lfunc_end176:
	.size	_Z6kernelI18scatter_to_stripedN15benchmark_utils11custom_typeIddEELj256ELj3ELj100EEvPKT0_PKjPS4_, .Lfunc_end176-_Z6kernelI18scatter_to_stripedN15benchmark_utils11custom_typeIddEELj256ELj3ELj100EEvPKT0_PKjPS4_
                                        ; -- End function
	.section	.AMDGPU.csdata,"",@progbits
; Kernel info:
; codeLenInByte = 320
; NumSgprs: 14
; NumVgprs: 20
; NumAgprs: 0
; TotalNumVgprs: 20
; ScratchSize: 0
; MemoryBound: 0
; FloatMode: 240
; IeeeMode: 1
; LDSByteSize: 12288 bytes/workgroup (compile time only)
; SGPRBlocks: 1
; VGPRBlocks: 2
; NumSGPRsForWavesPerEU: 14
; NumVGPRsForWavesPerEU: 20
; AccumOffset: 20
; Occupancy: 5
; WaveLimiterHint : 1
; COMPUTE_PGM_RSRC2:SCRATCH_EN: 0
; COMPUTE_PGM_RSRC2:USER_SGPR: 6
; COMPUTE_PGM_RSRC2:TRAP_HANDLER: 0
; COMPUTE_PGM_RSRC2:TGID_X_EN: 1
; COMPUTE_PGM_RSRC2:TGID_Y_EN: 0
; COMPUTE_PGM_RSRC2:TGID_Z_EN: 0
; COMPUTE_PGM_RSRC2:TIDIG_COMP_CNT: 0
; COMPUTE_PGM_RSRC3_GFX90A:ACCUM_OFFSET: 4
; COMPUTE_PGM_RSRC3_GFX90A:TG_SPLIT: 0
	.section	.text._Z6kernelI18scatter_to_stripedN15benchmark_utils11custom_typeIddEELj256ELj4ELj100EEvPKT0_PKjPS4_,"axG",@progbits,_Z6kernelI18scatter_to_stripedN15benchmark_utils11custom_typeIddEELj256ELj4ELj100EEvPKT0_PKjPS4_,comdat
	.protected	_Z6kernelI18scatter_to_stripedN15benchmark_utils11custom_typeIddEELj256ELj4ELj100EEvPKT0_PKjPS4_ ; -- Begin function _Z6kernelI18scatter_to_stripedN15benchmark_utils11custom_typeIddEELj256ELj4ELj100EEvPKT0_PKjPS4_
	.globl	_Z6kernelI18scatter_to_stripedN15benchmark_utils11custom_typeIddEELj256ELj4ELj100EEvPKT0_PKjPS4_
	.p2align	8
	.type	_Z6kernelI18scatter_to_stripedN15benchmark_utils11custom_typeIddEELj256ELj4ELj100EEvPKT0_PKjPS4_,@function
_Z6kernelI18scatter_to_stripedN15benchmark_utils11custom_typeIddEELj256ELj4ELj100EEvPKT0_PKjPS4_: ; @_Z6kernelI18scatter_to_stripedN15benchmark_utils11custom_typeIddEELj256ELj4ELj100EEvPKT0_PKjPS4_
; %bb.0:
	s_load_dwordx4 s[0:3], s[4:5], 0x0
	s_load_dwordx2 s[8:9], s[4:5], 0x10
	s_lshl_b32 s6, s6, 10
	s_mov_b32 s7, 0
	s_lshl_b64 s[4:5], s[6:7], 4
	s_waitcnt lgkmcnt(0)
	s_add_u32 s0, s0, s4
	s_addc_u32 s1, s1, s5
	v_lshlrev_b32_e32 v1, 4, v0
	v_mov_b32_e32 v2, s1
	v_add_co_u32_e32 v16, vcc, s0, v1
	v_addc_co_u32_e32 v17, vcc, 0, v2, vcc
	global_load_dwordx4 v[2:5], v1, s[0:1]
	s_movk_i32 s0, 0x2000
	v_add_co_u32_e32 v14, vcc, s0, v16
	s_lshl_b64 s[0:1], s[6:7], 2
	v_addc_co_u32_e32 v15, vcc, 0, v17, vcc
	s_add_u32 s0, s2, s0
	global_load_dwordx4 v[6:9], v[14:15], off offset:-4096
	global_load_dwordx4 v[10:13], v[14:15], off
	s_movk_i32 s10, 0x3000
	s_addc_u32 s1, s3, s1
	v_lshlrev_b32_e32 v14, 2, v0
	global_load_dword v18, v14, s[0:1]
	global_load_dword v19, v14, s[0:1] offset:1024
	global_load_dword v20, v14, s[0:1] offset:2048
	;; [unrolled: 1-line block ×3, first 2 shown]
	v_add_co_u32_e32 v14, vcc, s10, v16
	v_addc_co_u32_e32 v15, vcc, 0, v17, vcc
	global_load_dwordx4 v[14:17], v[14:15], off
	s_movk_i32 s0, 0x64
	s_waitcnt vmcnt(4)
	v_lshlrev_b32_e32 v18, 4, v18
	s_waitcnt vmcnt(3)
	v_lshlrev_b32_e32 v19, 4, v19
	s_waitcnt vmcnt(2)
	v_lshlrev_b32_e32 v20, 4, v20
	s_waitcnt vmcnt(1)
	v_lshlrev_b32_e32 v21, 4, v21
.LBB177_1:                              ; =>This Inner Loop Header: Depth=1
	ds_write_b128 v18, v[2:5]
	ds_write_b128 v19, v[6:9]
	ds_write_b128 v20, v[10:13]
	s_waitcnt vmcnt(0)
	ds_write_b128 v21, v[14:17]
	s_waitcnt lgkmcnt(0)
	s_barrier
	ds_read_b128 v[2:5], v1
	ds_read_b128 v[6:9], v1 offset:4096
	ds_read_b128 v[10:13], v1 offset:8192
	;; [unrolled: 1-line block ×3, first 2 shown]
	s_add_i32 s0, s0, -1
	s_cmp_lg_u32 s0, 0
	s_waitcnt lgkmcnt(0)
	s_barrier
	s_cbranch_scc1 .LBB177_1
; %bb.2:
	s_add_u32 s0, s8, s4
	s_addc_u32 s1, s9, s5
	v_lshlrev_b32_e32 v0, 4, v0
	v_mov_b32_e32 v1, s1
	v_add_co_u32_e32 v18, vcc, s0, v0
	v_addc_co_u32_e32 v19, vcc, 0, v1, vcc
	global_store_dwordx4 v0, v[2:5], s[0:1]
	v_add_co_u32_e32 v0, vcc, 0x1000, v18
	v_addc_co_u32_e32 v1, vcc, 0, v19, vcc
	global_store_dwordx4 v[0:1], v[6:9], off
	v_add_co_u32_e32 v0, vcc, 0x2000, v18
	v_addc_co_u32_e32 v1, vcc, 0, v19, vcc
	global_store_dwordx4 v[0:1], v[10:13], off
	;; [unrolled: 3-line block ×3, first 2 shown]
	s_endpgm
	.section	.rodata,"a",@progbits
	.p2align	6, 0x0
	.amdhsa_kernel _Z6kernelI18scatter_to_stripedN15benchmark_utils11custom_typeIddEELj256ELj4ELj100EEvPKT0_PKjPS4_
		.amdhsa_group_segment_fixed_size 16896
		.amdhsa_private_segment_fixed_size 0
		.amdhsa_kernarg_size 24
		.amdhsa_user_sgpr_count 6
		.amdhsa_user_sgpr_private_segment_buffer 1
		.amdhsa_user_sgpr_dispatch_ptr 0
		.amdhsa_user_sgpr_queue_ptr 0
		.amdhsa_user_sgpr_kernarg_segment_ptr 1
		.amdhsa_user_sgpr_dispatch_id 0
		.amdhsa_user_sgpr_flat_scratch_init 0
		.amdhsa_user_sgpr_kernarg_preload_length 0
		.amdhsa_user_sgpr_kernarg_preload_offset 0
		.amdhsa_user_sgpr_private_segment_size 0
		.amdhsa_uses_dynamic_stack 0
		.amdhsa_system_sgpr_private_segment_wavefront_offset 0
		.amdhsa_system_sgpr_workgroup_id_x 1
		.amdhsa_system_sgpr_workgroup_id_y 0
		.amdhsa_system_sgpr_workgroup_id_z 0
		.amdhsa_system_sgpr_workgroup_info 0
		.amdhsa_system_vgpr_workitem_id 0
		.amdhsa_next_free_vgpr 22
		.amdhsa_next_free_sgpr 11
		.amdhsa_accum_offset 24
		.amdhsa_reserve_vcc 1
		.amdhsa_reserve_flat_scratch 0
		.amdhsa_float_round_mode_32 0
		.amdhsa_float_round_mode_16_64 0
		.amdhsa_float_denorm_mode_32 3
		.amdhsa_float_denorm_mode_16_64 3
		.amdhsa_dx10_clamp 1
		.amdhsa_ieee_mode 1
		.amdhsa_fp16_overflow 0
		.amdhsa_tg_split 0
		.amdhsa_exception_fp_ieee_invalid_op 0
		.amdhsa_exception_fp_denorm_src 0
		.amdhsa_exception_fp_ieee_div_zero 0
		.amdhsa_exception_fp_ieee_overflow 0
		.amdhsa_exception_fp_ieee_underflow 0
		.amdhsa_exception_fp_ieee_inexact 0
		.amdhsa_exception_int_div_zero 0
	.end_amdhsa_kernel
	.section	.text._Z6kernelI18scatter_to_stripedN15benchmark_utils11custom_typeIddEELj256ELj4ELj100EEvPKT0_PKjPS4_,"axG",@progbits,_Z6kernelI18scatter_to_stripedN15benchmark_utils11custom_typeIddEELj256ELj4ELj100EEvPKT0_PKjPS4_,comdat
.Lfunc_end177:
	.size	_Z6kernelI18scatter_to_stripedN15benchmark_utils11custom_typeIddEELj256ELj4ELj100EEvPKT0_PKjPS4_, .Lfunc_end177-_Z6kernelI18scatter_to_stripedN15benchmark_utils11custom_typeIddEELj256ELj4ELj100EEvPKT0_PKjPS4_
                                        ; -- End function
	.section	.AMDGPU.csdata,"",@progbits
; Kernel info:
; codeLenInByte = 388
; NumSgprs: 15
; NumVgprs: 22
; NumAgprs: 0
; TotalNumVgprs: 22
; ScratchSize: 0
; MemoryBound: 0
; FloatMode: 240
; IeeeMode: 1
; LDSByteSize: 16896 bytes/workgroup (compile time only)
; SGPRBlocks: 1
; VGPRBlocks: 2
; NumSGPRsForWavesPerEU: 15
; NumVGPRsForWavesPerEU: 22
; AccumOffset: 24
; Occupancy: 3
; WaveLimiterHint : 1
; COMPUTE_PGM_RSRC2:SCRATCH_EN: 0
; COMPUTE_PGM_RSRC2:USER_SGPR: 6
; COMPUTE_PGM_RSRC2:TRAP_HANDLER: 0
; COMPUTE_PGM_RSRC2:TGID_X_EN: 1
; COMPUTE_PGM_RSRC2:TGID_Y_EN: 0
; COMPUTE_PGM_RSRC2:TGID_Z_EN: 0
; COMPUTE_PGM_RSRC2:TIDIG_COMP_CNT: 0
; COMPUTE_PGM_RSRC3_GFX90A:ACCUM_OFFSET: 5
; COMPUTE_PGM_RSRC3_GFX90A:TG_SPLIT: 0
	.section	.text._Z6kernelI18scatter_to_stripedN15benchmark_utils11custom_typeIddEELj256ELj7ELj100EEvPKT0_PKjPS4_,"axG",@progbits,_Z6kernelI18scatter_to_stripedN15benchmark_utils11custom_typeIddEELj256ELj7ELj100EEvPKT0_PKjPS4_,comdat
	.protected	_Z6kernelI18scatter_to_stripedN15benchmark_utils11custom_typeIddEELj256ELj7ELj100EEvPKT0_PKjPS4_ ; -- Begin function _Z6kernelI18scatter_to_stripedN15benchmark_utils11custom_typeIddEELj256ELj7ELj100EEvPKT0_PKjPS4_
	.globl	_Z6kernelI18scatter_to_stripedN15benchmark_utils11custom_typeIddEELj256ELj7ELj100EEvPKT0_PKjPS4_
	.p2align	8
	.type	_Z6kernelI18scatter_to_stripedN15benchmark_utils11custom_typeIddEELj256ELj7ELj100EEvPKT0_PKjPS4_,@function
_Z6kernelI18scatter_to_stripedN15benchmark_utils11custom_typeIddEELj256ELj7ELj100EEvPKT0_PKjPS4_: ; @_Z6kernelI18scatter_to_stripedN15benchmark_utils11custom_typeIddEELj256ELj7ELj100EEvPKT0_PKjPS4_
; %bb.0:
	s_load_dwordx4 s[0:3], s[4:5], 0x0
	s_load_dwordx2 s[8:9], s[4:5], 0x10
	s_mulk_i32 s6, 0x700
	s_mov_b32 s7, 0
	s_lshl_b64 s[4:5], s[6:7], 4
	s_waitcnt lgkmcnt(0)
	s_add_u32 s0, s0, s4
	s_addc_u32 s1, s1, s5
	v_lshlrev_b32_e32 v1, 4, v0
	v_mov_b32_e32 v2, s1
	v_add_co_u32_e32 v24, vcc, s0, v1
	v_addc_co_u32_e32 v25, vcc, 0, v2, vcc
	global_load_dwordx4 v[2:5], v1, s[0:1]
	s_movk_i32 s0, 0x2000
	v_add_co_u32_e32 v14, vcc, s0, v24
	v_addc_co_u32_e32 v15, vcc, 0, v25, vcc
	s_movk_i32 s0, 0x4000
	v_add_co_u32_e32 v22, vcc, s0, v24
	v_addc_co_u32_e32 v23, vcc, 0, v25, vcc
	s_movk_i32 s0, 0x6000
	v_add_co_u32_e32 v30, vcc, s0, v24
	s_lshl_b64 s[0:1], s[6:7], 2
	s_add_u32 s0, s2, s0
	v_addc_co_u32_e32 v31, vcc, 0, v25, vcc
	s_addc_u32 s1, s3, s1
	v_lshlrev_b32_e32 v34, 2, v0
	global_load_dwordx4 v[6:9], v[14:15], off offset:-4096
	global_load_dwordx4 v[10:13], v[14:15], off
	s_nop 0
	global_load_dwordx4 v[14:17], v[22:23], off offset:-4096
	global_load_dwordx4 v[18:21], v[22:23], off
	v_mov_b32_e32 v22, s1
	v_add_co_u32_e32 v23, vcc, s0, v34
	v_addc_co_u32_e32 v22, vcc, 0, v22, vcc
	v_add_co_u32_e32 v32, vcc, 0x1000, v23
	v_addc_co_u32_e32 v33, vcc, 0, v22, vcc
	global_load_dword v35, v34, s[0:1]
	global_load_dword v36, v34, s[0:1] offset:1024
	global_load_dword v37, v34, s[0:1] offset:2048
	;; [unrolled: 1-line block ×3, first 2 shown]
	global_load_dword v39, v[32:33], off
	global_load_dword v40, v[32:33], off offset:1024
	global_load_dword v41, v[32:33], off offset:2048
	global_load_dwordx4 v[26:29], v[30:31], off offset:-4096
	global_load_dwordx4 v[22:25], v[30:31], off
	s_movk_i32 s0, 0x64
	s_waitcnt vmcnt(8)
	v_lshlrev_b32_e32 v30, 4, v35
	s_waitcnt vmcnt(7)
	v_lshlrev_b32_e32 v31, 4, v36
	;; [unrolled: 2-line block ×7, first 2 shown]
.LBB178_1:                              ; =>This Inner Loop Header: Depth=1
	ds_write_b128 v30, v[2:5]
	ds_write_b128 v31, v[6:9]
	;; [unrolled: 1-line block ×5, first 2 shown]
	s_waitcnt vmcnt(1)
	ds_write_b128 v35, v[26:29]
	s_waitcnt vmcnt(0)
	ds_write_b128 v36, v[22:25]
	s_waitcnt lgkmcnt(0)
	s_barrier
	ds_read_b128 v[2:5], v1
	ds_read_b128 v[6:9], v1 offset:4096
	ds_read_b128 v[10:13], v1 offset:8192
	;; [unrolled: 1-line block ×6, first 2 shown]
	s_add_i32 s0, s0, -1
	s_cmp_lg_u32 s0, 0
	s_waitcnt lgkmcnt(0)
	s_barrier
	s_cbranch_scc1 .LBB178_1
; %bb.2:
	s_add_u32 s0, s8, s4
	s_addc_u32 s1, s9, s5
	v_lshlrev_b32_e32 v0, 4, v0
	v_mov_b32_e32 v1, s1
	v_add_co_u32_e32 v30, vcc, s0, v0
	v_addc_co_u32_e32 v31, vcc, 0, v1, vcc
	global_store_dwordx4 v0, v[2:5], s[0:1]
	v_add_co_u32_e32 v0, vcc, 0x1000, v30
	v_addc_co_u32_e32 v1, vcc, 0, v31, vcc
	global_store_dwordx4 v[0:1], v[6:9], off
	v_add_co_u32_e32 v0, vcc, 0x2000, v30
	v_addc_co_u32_e32 v1, vcc, 0, v31, vcc
	global_store_dwordx4 v[0:1], v[10:13], off
	;; [unrolled: 3-line block ×6, first 2 shown]
	s_endpgm
	.section	.rodata,"a",@progbits
	.p2align	6, 0x0
	.amdhsa_kernel _Z6kernelI18scatter_to_stripedN15benchmark_utils11custom_typeIddEELj256ELj7ELj100EEvPKT0_PKjPS4_
		.amdhsa_group_segment_fixed_size 28672
		.amdhsa_private_segment_fixed_size 0
		.amdhsa_kernarg_size 24
		.amdhsa_user_sgpr_count 6
		.amdhsa_user_sgpr_private_segment_buffer 1
		.amdhsa_user_sgpr_dispatch_ptr 0
		.amdhsa_user_sgpr_queue_ptr 0
		.amdhsa_user_sgpr_kernarg_segment_ptr 1
		.amdhsa_user_sgpr_dispatch_id 0
		.amdhsa_user_sgpr_flat_scratch_init 0
		.amdhsa_user_sgpr_kernarg_preload_length 0
		.amdhsa_user_sgpr_kernarg_preload_offset 0
		.amdhsa_user_sgpr_private_segment_size 0
		.amdhsa_uses_dynamic_stack 0
		.amdhsa_system_sgpr_private_segment_wavefront_offset 0
		.amdhsa_system_sgpr_workgroup_id_x 1
		.amdhsa_system_sgpr_workgroup_id_y 0
		.amdhsa_system_sgpr_workgroup_id_z 0
		.amdhsa_system_sgpr_workgroup_info 0
		.amdhsa_system_vgpr_workitem_id 0
		.amdhsa_next_free_vgpr 42
		.amdhsa_next_free_sgpr 10
		.amdhsa_accum_offset 44
		.amdhsa_reserve_vcc 1
		.amdhsa_reserve_flat_scratch 0
		.amdhsa_float_round_mode_32 0
		.amdhsa_float_round_mode_16_64 0
		.amdhsa_float_denorm_mode_32 3
		.amdhsa_float_denorm_mode_16_64 3
		.amdhsa_dx10_clamp 1
		.amdhsa_ieee_mode 1
		.amdhsa_fp16_overflow 0
		.amdhsa_tg_split 0
		.amdhsa_exception_fp_ieee_invalid_op 0
		.amdhsa_exception_fp_denorm_src 0
		.amdhsa_exception_fp_ieee_div_zero 0
		.amdhsa_exception_fp_ieee_overflow 0
		.amdhsa_exception_fp_ieee_underflow 0
		.amdhsa_exception_fp_ieee_inexact 0
		.amdhsa_exception_int_div_zero 0
	.end_amdhsa_kernel
	.section	.text._Z6kernelI18scatter_to_stripedN15benchmark_utils11custom_typeIddEELj256ELj7ELj100EEvPKT0_PKjPS4_,"axG",@progbits,_Z6kernelI18scatter_to_stripedN15benchmark_utils11custom_typeIddEELj256ELj7ELj100EEvPKT0_PKjPS4_,comdat
.Lfunc_end178:
	.size	_Z6kernelI18scatter_to_stripedN15benchmark_utils11custom_typeIddEELj256ELj7ELj100EEvPKT0_PKjPS4_, .Lfunc_end178-_Z6kernelI18scatter_to_stripedN15benchmark_utils11custom_typeIddEELj256ELj7ELj100EEvPKT0_PKjPS4_
                                        ; -- End function
	.section	.AMDGPU.csdata,"",@progbits
; Kernel info:
; codeLenInByte = 612
; NumSgprs: 14
; NumVgprs: 42
; NumAgprs: 0
; TotalNumVgprs: 42
; ScratchSize: 0
; MemoryBound: 1
; FloatMode: 240
; IeeeMode: 1
; LDSByteSize: 28672 bytes/workgroup (compile time only)
; SGPRBlocks: 1
; VGPRBlocks: 5
; NumSGPRsForWavesPerEU: 14
; NumVGPRsForWavesPerEU: 42
; AccumOffset: 44
; Occupancy: 2
; WaveLimiterHint : 1
; COMPUTE_PGM_RSRC2:SCRATCH_EN: 0
; COMPUTE_PGM_RSRC2:USER_SGPR: 6
; COMPUTE_PGM_RSRC2:TRAP_HANDLER: 0
; COMPUTE_PGM_RSRC2:TGID_X_EN: 1
; COMPUTE_PGM_RSRC2:TGID_Y_EN: 0
; COMPUTE_PGM_RSRC2:TGID_Z_EN: 0
; COMPUTE_PGM_RSRC2:TIDIG_COMP_CNT: 0
; COMPUTE_PGM_RSRC3_GFX90A:ACCUM_OFFSET: 10
; COMPUTE_PGM_RSRC3_GFX90A:TG_SPLIT: 0
	.section	.text._Z6kernelI18scatter_to_stripedN15benchmark_utils11custom_typeIddEELj256ELj8ELj100EEvPKT0_PKjPS4_,"axG",@progbits,_Z6kernelI18scatter_to_stripedN15benchmark_utils11custom_typeIddEELj256ELj8ELj100EEvPKT0_PKjPS4_,comdat
	.protected	_Z6kernelI18scatter_to_stripedN15benchmark_utils11custom_typeIddEELj256ELj8ELj100EEvPKT0_PKjPS4_ ; -- Begin function _Z6kernelI18scatter_to_stripedN15benchmark_utils11custom_typeIddEELj256ELj8ELj100EEvPKT0_PKjPS4_
	.globl	_Z6kernelI18scatter_to_stripedN15benchmark_utils11custom_typeIddEELj256ELj8ELj100EEvPKT0_PKjPS4_
	.p2align	8
	.type	_Z6kernelI18scatter_to_stripedN15benchmark_utils11custom_typeIddEELj256ELj8ELj100EEvPKT0_PKjPS4_,@function
_Z6kernelI18scatter_to_stripedN15benchmark_utils11custom_typeIddEELj256ELj8ELj100EEvPKT0_PKjPS4_: ; @_Z6kernelI18scatter_to_stripedN15benchmark_utils11custom_typeIddEELj256ELj8ELj100EEvPKT0_PKjPS4_
; %bb.0:
	s_load_dwordx4 s[0:3], s[4:5], 0x0
	s_load_dwordx2 s[8:9], s[4:5], 0x10
	s_lshl_b32 s6, s6, 11
	s_mov_b32 s7, 0
	s_lshl_b64 s[4:5], s[6:7], 4
	s_waitcnt lgkmcnt(0)
	s_add_u32 s0, s0, s4
	s_addc_u32 s1, s1, s5
	v_lshlrev_b32_e32 v1, 4, v0
	v_mov_b32_e32 v2, s1
	v_add_co_u32_e32 v32, vcc, s0, v1
	v_addc_co_u32_e32 v33, vcc, 0, v2, vcc
	global_load_dwordx4 v[2:5], v1, s[0:1]
	s_movk_i32 s0, 0x2000
	v_add_co_u32_e32 v14, vcc, s0, v32
	v_addc_co_u32_e32 v15, vcc, 0, v33, vcc
	s_movk_i32 s0, 0x4000
	v_add_co_u32_e32 v22, vcc, s0, v32
	v_addc_co_u32_e32 v23, vcc, 0, v33, vcc
	s_movk_i32 s0, 0x6000
	v_add_co_u32_e32 v30, vcc, s0, v32
	s_lshl_b64 s[0:1], s[6:7], 2
	s_add_u32 s0, s2, s0
	v_addc_co_u32_e32 v31, vcc, 0, v33, vcc
	s_addc_u32 s1, s3, s1
	v_lshlrev_b32_e32 v34, 2, v0
	global_load_dwordx4 v[6:9], v[14:15], off offset:-4096
	global_load_dwordx4 v[10:13], v[14:15], off
	s_nop 0
	global_load_dwordx4 v[14:17], v[22:23], off offset:-4096
	global_load_dwordx4 v[18:21], v[22:23], off
	s_nop 0
	global_load_dwordx4 v[22:25], v[30:31], off offset:-4096
	global_load_dwordx4 v[26:29], v[30:31], off
	v_mov_b32_e32 v30, s1
	v_add_co_u32_e32 v31, vcc, s0, v34
	s_movk_i32 s10, 0x1000
	v_addc_co_u32_e32 v35, vcc, 0, v30, vcc
	v_add_co_u32_e32 v30, vcc, s10, v31
	s_movk_i32 s11, 0x7000
	v_addc_co_u32_e32 v31, vcc, 0, v35, vcc
	global_load_dword v35, v34, s[0:1]
	global_load_dword v36, v34, s[0:1] offset:1024
	global_load_dword v37, v34, s[0:1] offset:2048
	global_load_dword v38, v34, s[0:1] offset:3072
	global_load_dword v39, v[30:31], off
	global_load_dword v40, v[30:31], off offset:1024
	global_load_dword v41, v[30:31], off offset:2048
	;; [unrolled: 1-line block ×3, first 2 shown]
	v_add_co_u32_e32 v30, vcc, s11, v32
	v_addc_co_u32_e32 v31, vcc, 0, v33, vcc
	global_load_dwordx4 v[30:33], v[30:31], off
	s_movk_i32 s0, 0x64
	s_waitcnt vmcnt(8)
	v_lshlrev_b32_e32 v34, 4, v35
	s_waitcnt vmcnt(7)
	v_lshlrev_b32_e32 v35, 4, v36
	;; [unrolled: 2-line block ×8, first 2 shown]
.LBB179_1:                              ; =>This Inner Loop Header: Depth=1
	ds_write_b128 v34, v[2:5]
	ds_write_b128 v35, v[6:9]
	;; [unrolled: 1-line block ×7, first 2 shown]
	s_waitcnt vmcnt(0)
	ds_write_b128 v41, v[30:33]
	s_waitcnt lgkmcnt(0)
	s_barrier
	ds_read_b128 v[2:5], v1
	ds_read_b128 v[6:9], v1 offset:4096
	ds_read_b128 v[10:13], v1 offset:8192
	;; [unrolled: 1-line block ×7, first 2 shown]
	s_add_i32 s0, s0, -1
	s_cmp_lg_u32 s0, 0
	s_waitcnt lgkmcnt(0)
	s_barrier
	s_cbranch_scc1 .LBB179_1
; %bb.2:
	s_add_u32 s0, s8, s4
	s_addc_u32 s1, s9, s5
	v_lshlrev_b32_e32 v0, 4, v0
	v_mov_b32_e32 v1, s1
	v_add_co_u32_e32 v34, vcc, s0, v0
	v_addc_co_u32_e32 v35, vcc, 0, v1, vcc
	global_store_dwordx4 v0, v[2:5], s[0:1]
	v_add_co_u32_e32 v0, vcc, 0x1000, v34
	v_addc_co_u32_e32 v1, vcc, 0, v35, vcc
	global_store_dwordx4 v[0:1], v[6:9], off
	v_add_co_u32_e32 v0, vcc, 0x2000, v34
	v_addc_co_u32_e32 v1, vcc, 0, v35, vcc
	global_store_dwordx4 v[0:1], v[10:13], off
	;; [unrolled: 3-line block ×7, first 2 shown]
	s_endpgm
	.section	.rodata,"a",@progbits
	.p2align	6, 0x0
	.amdhsa_kernel _Z6kernelI18scatter_to_stripedN15benchmark_utils11custom_typeIddEELj256ELj8ELj100EEvPKT0_PKjPS4_
		.amdhsa_group_segment_fixed_size 33792
		.amdhsa_private_segment_fixed_size 0
		.amdhsa_kernarg_size 24
		.amdhsa_user_sgpr_count 6
		.amdhsa_user_sgpr_private_segment_buffer 1
		.amdhsa_user_sgpr_dispatch_ptr 0
		.amdhsa_user_sgpr_queue_ptr 0
		.amdhsa_user_sgpr_kernarg_segment_ptr 1
		.amdhsa_user_sgpr_dispatch_id 0
		.amdhsa_user_sgpr_flat_scratch_init 0
		.amdhsa_user_sgpr_kernarg_preload_length 0
		.amdhsa_user_sgpr_kernarg_preload_offset 0
		.amdhsa_user_sgpr_private_segment_size 0
		.amdhsa_uses_dynamic_stack 0
		.amdhsa_system_sgpr_private_segment_wavefront_offset 0
		.amdhsa_system_sgpr_workgroup_id_x 1
		.amdhsa_system_sgpr_workgroup_id_y 0
		.amdhsa_system_sgpr_workgroup_id_z 0
		.amdhsa_system_sgpr_workgroup_info 0
		.amdhsa_system_vgpr_workitem_id 0
		.amdhsa_next_free_vgpr 43
		.amdhsa_next_free_sgpr 12
		.amdhsa_accum_offset 44
		.amdhsa_reserve_vcc 1
		.amdhsa_reserve_flat_scratch 0
		.amdhsa_float_round_mode_32 0
		.amdhsa_float_round_mode_16_64 0
		.amdhsa_float_denorm_mode_32 3
		.amdhsa_float_denorm_mode_16_64 3
		.amdhsa_dx10_clamp 1
		.amdhsa_ieee_mode 1
		.amdhsa_fp16_overflow 0
		.amdhsa_tg_split 0
		.amdhsa_exception_fp_ieee_invalid_op 0
		.amdhsa_exception_fp_denorm_src 0
		.amdhsa_exception_fp_ieee_div_zero 0
		.amdhsa_exception_fp_ieee_overflow 0
		.amdhsa_exception_fp_ieee_underflow 0
		.amdhsa_exception_fp_ieee_inexact 0
		.amdhsa_exception_int_div_zero 0
	.end_amdhsa_kernel
	.section	.text._Z6kernelI18scatter_to_stripedN15benchmark_utils11custom_typeIddEELj256ELj8ELj100EEvPKT0_PKjPS4_,"axG",@progbits,_Z6kernelI18scatter_to_stripedN15benchmark_utils11custom_typeIddEELj256ELj8ELj100EEvPKT0_PKjPS4_,comdat
.Lfunc_end179:
	.size	_Z6kernelI18scatter_to_stripedN15benchmark_utils11custom_typeIddEELj256ELj8ELj100EEvPKT0_PKjPS4_, .Lfunc_end179-_Z6kernelI18scatter_to_stripedN15benchmark_utils11custom_typeIddEELj256ELj8ELj100EEvPKT0_PKjPS4_
                                        ; -- End function
	.section	.AMDGPU.csdata,"",@progbits
; Kernel info:
; codeLenInByte = 684
; NumSgprs: 16
; NumVgprs: 43
; NumAgprs: 0
; TotalNumVgprs: 43
; ScratchSize: 0
; MemoryBound: 1
; FloatMode: 240
; IeeeMode: 1
; LDSByteSize: 33792 bytes/workgroup (compile time only)
; SGPRBlocks: 1
; VGPRBlocks: 5
; NumSGPRsForWavesPerEU: 16
; NumVGPRsForWavesPerEU: 43
; AccumOffset: 44
; Occupancy: 1
; WaveLimiterHint : 1
; COMPUTE_PGM_RSRC2:SCRATCH_EN: 0
; COMPUTE_PGM_RSRC2:USER_SGPR: 6
; COMPUTE_PGM_RSRC2:TRAP_HANDLER: 0
; COMPUTE_PGM_RSRC2:TGID_X_EN: 1
; COMPUTE_PGM_RSRC2:TGID_Y_EN: 0
; COMPUTE_PGM_RSRC2:TGID_Z_EN: 0
; COMPUTE_PGM_RSRC2:TIDIG_COMP_CNT: 0
; COMPUTE_PGM_RSRC3_GFX90A:ACCUM_OFFSET: 10
; COMPUTE_PGM_RSRC3_GFX90A:TG_SPLIT: 0
	.text
	.p2alignl 6, 3212836864
	.fill 256, 4, 3212836864
	.type	__hip_cuid_59fb231f91c3148c,@object ; @__hip_cuid_59fb231f91c3148c
	.section	.bss,"aw",@nobits
	.globl	__hip_cuid_59fb231f91c3148c
__hip_cuid_59fb231f91c3148c:
	.byte	0                               ; 0x0
	.size	__hip_cuid_59fb231f91c3148c, 1

	.ident	"AMD clang version 19.0.0git (https://github.com/RadeonOpenCompute/llvm-project roc-6.4.0 25133 c7fe45cf4b819c5991fe208aaa96edf142730f1d)"
	.section	".note.GNU-stack","",@progbits
	.addrsig
	.addrsig_sym __hip_cuid_59fb231f91c3148c
	.amdgpu_metadata
---
amdhsa.kernels:
  - .agpr_count:     0
    .args:
      - .address_space:  global
        .offset:         0
        .size:           8
        .value_kind:     global_buffer
      - .address_space:  global
        .offset:         8
        .size:           8
        .value_kind:     global_buffer
      - .address_space:  global
        .offset:         16
        .size:           8
        .value_kind:     global_buffer
    .group_segment_fixed_size: 1024
    .kernarg_segment_align: 8
    .kernarg_segment_size: 24
    .language:       OpenCL C
    .language_version:
      - 2
      - 0
    .max_flat_workgroup_size: 256
    .name:           _Z6kernelI18blocked_to_stripediLj256ELj1ELj100EEvPKT0_PKjPS1_
    .private_segment_fixed_size: 0
    .sgpr_count:     11
    .sgpr_spill_count: 0
    .symbol:         _Z6kernelI18blocked_to_stripediLj256ELj1ELj100EEvPKT0_PKjPS1_.kd
    .uniform_work_group_size: 1
    .uses_dynamic_stack: false
    .vgpr_count:     3
    .vgpr_spill_count: 0
    .wavefront_size: 64
  - .agpr_count:     0
    .args:
      - .address_space:  global
        .offset:         0
        .size:           8
        .value_kind:     global_buffer
      - .address_space:  global
        .offset:         8
        .size:           8
        .value_kind:     global_buffer
      - .address_space:  global
        .offset:         16
        .size:           8
        .value_kind:     global_buffer
    .group_segment_fixed_size: 2112
    .kernarg_segment_align: 8
    .kernarg_segment_size: 24
    .language:       OpenCL C
    .language_version:
      - 2
      - 0
    .max_flat_workgroup_size: 256
    .name:           _Z6kernelI18blocked_to_stripediLj256ELj2ELj100EEvPKT0_PKjPS1_
    .private_segment_fixed_size: 0
    .sgpr_count:     11
    .sgpr_spill_count: 0
    .symbol:         _Z6kernelI18blocked_to_stripediLj256ELj2ELj100EEvPKT0_PKjPS1_.kd
    .uniform_work_group_size: 1
    .uses_dynamic_stack: false
    .vgpr_count:     6
    .vgpr_spill_count: 0
    .wavefront_size: 64
  - .agpr_count:     0
    .args:
      - .address_space:  global
        .offset:         0
        .size:           8
        .value_kind:     global_buffer
      - .address_space:  global
        .offset:         8
        .size:           8
        .value_kind:     global_buffer
      - .address_space:  global
        .offset:         16
        .size:           8
        .value_kind:     global_buffer
    .group_segment_fixed_size: 3072
    .kernarg_segment_align: 8
    .kernarg_segment_size: 24
    .language:       OpenCL C
    .language_version:
      - 2
      - 0
    .max_flat_workgroup_size: 256
    .name:           _Z6kernelI18blocked_to_stripediLj256ELj3ELj100EEvPKT0_PKjPS1_
    .private_segment_fixed_size: 0
    .sgpr_count:     11
    .sgpr_spill_count: 0
    .symbol:         _Z6kernelI18blocked_to_stripediLj256ELj3ELj100EEvPKT0_PKjPS1_.kd
    .uniform_work_group_size: 1
    .uses_dynamic_stack: false
    .vgpr_count:     6
    .vgpr_spill_count: 0
    .wavefront_size: 64
  - .agpr_count:     0
    .args:
      - .address_space:  global
        .offset:         0
        .size:           8
        .value_kind:     global_buffer
      - .address_space:  global
        .offset:         8
        .size:           8
        .value_kind:     global_buffer
      - .address_space:  global
        .offset:         16
        .size:           8
        .value_kind:     global_buffer
    .group_segment_fixed_size: 4224
    .kernarg_segment_align: 8
    .kernarg_segment_size: 24
    .language:       OpenCL C
    .language_version:
      - 2
      - 0
    .max_flat_workgroup_size: 256
    .name:           _Z6kernelI18blocked_to_stripediLj256ELj4ELj100EEvPKT0_PKjPS1_
    .private_segment_fixed_size: 0
    .sgpr_count:     11
    .sgpr_spill_count: 0
    .symbol:         _Z6kernelI18blocked_to_stripediLj256ELj4ELj100EEvPKT0_PKjPS1_.kd
    .uniform_work_group_size: 1
    .uses_dynamic_stack: false
    .vgpr_count:     10
    .vgpr_spill_count: 0
    .wavefront_size: 64
  - .agpr_count:     0
    .args:
      - .address_space:  global
        .offset:         0
        .size:           8
        .value_kind:     global_buffer
      - .address_space:  global
        .offset:         8
        .size:           8
        .value_kind:     global_buffer
      - .address_space:  global
        .offset:         16
        .size:           8
        .value_kind:     global_buffer
    .group_segment_fixed_size: 7168
    .kernarg_segment_align: 8
    .kernarg_segment_size: 24
    .language:       OpenCL C
    .language_version:
      - 2
      - 0
    .max_flat_workgroup_size: 256
    .name:           _Z6kernelI18blocked_to_stripediLj256ELj7ELj100EEvPKT0_PKjPS1_
    .private_segment_fixed_size: 0
    .sgpr_count:     11
    .sgpr_spill_count: 0
    .symbol:         _Z6kernelI18blocked_to_stripediLj256ELj7ELj100EEvPKT0_PKjPS1_.kd
    .uniform_work_group_size: 1
    .uses_dynamic_stack: false
    .vgpr_count:     10
    .vgpr_spill_count: 0
    .wavefront_size: 64
  - .agpr_count:     0
    .args:
      - .address_space:  global
        .offset:         0
        .size:           8
        .value_kind:     global_buffer
      - .address_space:  global
        .offset:         8
        .size:           8
        .value_kind:     global_buffer
      - .address_space:  global
        .offset:         16
        .size:           8
        .value_kind:     global_buffer
    .group_segment_fixed_size: 8448
    .kernarg_segment_align: 8
    .kernarg_segment_size: 24
    .language:       OpenCL C
    .language_version:
      - 2
      - 0
    .max_flat_workgroup_size: 256
    .name:           _Z6kernelI18blocked_to_stripediLj256ELj8ELj100EEvPKT0_PKjPS1_
    .private_segment_fixed_size: 0
    .sgpr_count:     11
    .sgpr_spill_count: 0
    .symbol:         _Z6kernelI18blocked_to_stripediLj256ELj8ELj100EEvPKT0_PKjPS1_.kd
    .uniform_work_group_size: 1
    .uses_dynamic_stack: false
    .vgpr_count:     18
    .vgpr_spill_count: 0
    .wavefront_size: 64
  - .agpr_count:     0
    .args:
      - .address_space:  global
        .offset:         0
        .size:           8
        .value_kind:     global_buffer
      - .address_space:  global
        .offset:         8
        .size:           8
        .value_kind:     global_buffer
      - .address_space:  global
        .offset:         16
        .size:           8
        .value_kind:     global_buffer
    .group_segment_fixed_size: 256
    .kernarg_segment_align: 8
    .kernarg_segment_size: 24
    .language:       OpenCL C
    .language_version:
      - 2
      - 0
    .max_flat_workgroup_size: 256
    .name:           _Z6kernelI18blocked_to_stripedaLj256ELj1ELj100EEvPKT0_PKjPS1_
    .private_segment_fixed_size: 0
    .sgpr_count:     11
    .sgpr_spill_count: 0
    .symbol:         _Z6kernelI18blocked_to_stripedaLj256ELj1ELj100EEvPKT0_PKjPS1_.kd
    .uniform_work_group_size: 1
    .uses_dynamic_stack: false
    .vgpr_count:     4
    .vgpr_spill_count: 0
    .wavefront_size: 64
  - .agpr_count:     0
    .args:
      - .address_space:  global
        .offset:         0
        .size:           8
        .value_kind:     global_buffer
      - .address_space:  global
        .offset:         8
        .size:           8
        .value_kind:     global_buffer
      - .address_space:  global
        .offset:         16
        .size:           8
        .value_kind:     global_buffer
    .group_segment_fixed_size: 528
    .kernarg_segment_align: 8
    .kernarg_segment_size: 24
    .language:       OpenCL C
    .language_version:
      - 2
      - 0
    .max_flat_workgroup_size: 256
    .name:           _Z6kernelI18blocked_to_stripedaLj256ELj2ELj100EEvPKT0_PKjPS1_
    .private_segment_fixed_size: 0
    .sgpr_count:     11
    .sgpr_spill_count: 0
    .symbol:         _Z6kernelI18blocked_to_stripedaLj256ELj2ELj100EEvPKT0_PKjPS1_.kd
    .uniform_work_group_size: 1
    .uses_dynamic_stack: false
    .vgpr_count:     7
    .vgpr_spill_count: 0
    .wavefront_size: 64
  - .agpr_count:     0
    .args:
      - .address_space:  global
        .offset:         0
        .size:           8
        .value_kind:     global_buffer
      - .address_space:  global
        .offset:         8
        .size:           8
        .value_kind:     global_buffer
      - .address_space:  global
        .offset:         16
        .size:           8
        .value_kind:     global_buffer
    .group_segment_fixed_size: 768
    .kernarg_segment_align: 8
    .kernarg_segment_size: 24
    .language:       OpenCL C
    .language_version:
      - 2
      - 0
    .max_flat_workgroup_size: 256
    .name:           _Z6kernelI18blocked_to_stripedaLj256ELj3ELj100EEvPKT0_PKjPS1_
    .private_segment_fixed_size: 0
    .sgpr_count:     11
    .sgpr_spill_count: 0
    .symbol:         _Z6kernelI18blocked_to_stripedaLj256ELj3ELj100EEvPKT0_PKjPS1_.kd
    .uniform_work_group_size: 1
    .uses_dynamic_stack: false
    .vgpr_count:     7
    .vgpr_spill_count: 0
    .wavefront_size: 64
  - .agpr_count:     0
    .args:
      - .address_space:  global
        .offset:         0
        .size:           8
        .value_kind:     global_buffer
      - .address_space:  global
        .offset:         8
        .size:           8
        .value_kind:     global_buffer
      - .address_space:  global
        .offset:         16
        .size:           8
        .value_kind:     global_buffer
    .group_segment_fixed_size: 1056
    .kernarg_segment_align: 8
    .kernarg_segment_size: 24
    .language:       OpenCL C
    .language_version:
      - 2
      - 0
    .max_flat_workgroup_size: 256
    .name:           _Z6kernelI18blocked_to_stripedaLj256ELj4ELj100EEvPKT0_PKjPS1_
    .private_segment_fixed_size: 0
    .sgpr_count:     11
    .sgpr_spill_count: 0
    .symbol:         _Z6kernelI18blocked_to_stripedaLj256ELj4ELj100EEvPKT0_PKjPS1_.kd
    .uniform_work_group_size: 1
    .uses_dynamic_stack: false
    .vgpr_count:     12
    .vgpr_spill_count: 0
    .wavefront_size: 64
  - .agpr_count:     0
    .args:
      - .address_space:  global
        .offset:         0
        .size:           8
        .value_kind:     global_buffer
      - .address_space:  global
        .offset:         8
        .size:           8
        .value_kind:     global_buffer
      - .address_space:  global
        .offset:         16
        .size:           8
        .value_kind:     global_buffer
    .group_segment_fixed_size: 1792
    .kernarg_segment_align: 8
    .kernarg_segment_size: 24
    .language:       OpenCL C
    .language_version:
      - 2
      - 0
    .max_flat_workgroup_size: 256
    .name:           _Z6kernelI18blocked_to_stripedaLj256ELj7ELj100EEvPKT0_PKjPS1_
    .private_segment_fixed_size: 0
    .sgpr_count:     11
    .sgpr_spill_count: 0
    .symbol:         _Z6kernelI18blocked_to_stripedaLj256ELj7ELj100EEvPKT0_PKjPS1_.kd
    .uniform_work_group_size: 1
    .uses_dynamic_stack: false
    .vgpr_count:     11
    .vgpr_spill_count: 0
    .wavefront_size: 64
  - .agpr_count:     0
    .args:
      - .address_space:  global
        .offset:         0
        .size:           8
        .value_kind:     global_buffer
      - .address_space:  global
        .offset:         8
        .size:           8
        .value_kind:     global_buffer
      - .address_space:  global
        .offset:         16
        .size:           8
        .value_kind:     global_buffer
    .group_segment_fixed_size: 2112
    .kernarg_segment_align: 8
    .kernarg_segment_size: 24
    .language:       OpenCL C
    .language_version:
      - 2
      - 0
    .max_flat_workgroup_size: 256
    .name:           _Z6kernelI18blocked_to_stripedaLj256ELj8ELj100EEvPKT0_PKjPS1_
    .private_segment_fixed_size: 0
    .sgpr_count:     11
    .sgpr_spill_count: 0
    .symbol:         _Z6kernelI18blocked_to_stripedaLj256ELj8ELj100EEvPKT0_PKjPS1_.kd
    .uniform_work_group_size: 1
    .uses_dynamic_stack: false
    .vgpr_count:     21
    .vgpr_spill_count: 0
    .wavefront_size: 64
  - .agpr_count:     0
    .args:
      - .address_space:  global
        .offset:         0
        .size:           8
        .value_kind:     global_buffer
      - .address_space:  global
        .offset:         8
        .size:           8
        .value_kind:     global_buffer
      - .address_space:  global
        .offset:         16
        .size:           8
        .value_kind:     global_buffer
    .group_segment_fixed_size: 2048
    .kernarg_segment_align: 8
    .kernarg_segment_size: 24
    .language:       OpenCL C
    .language_version:
      - 2
      - 0
    .max_flat_workgroup_size: 256
    .name:           _Z6kernelI18blocked_to_stripedxLj256ELj1ELj100EEvPKT0_PKjPS1_
    .private_segment_fixed_size: 0
    .sgpr_count:     11
    .sgpr_spill_count: 0
    .symbol:         _Z6kernelI18blocked_to_stripedxLj256ELj1ELj100EEvPKT0_PKjPS1_.kd
    .uniform_work_group_size: 1
    .uses_dynamic_stack: false
    .vgpr_count:     4
    .vgpr_spill_count: 0
    .wavefront_size: 64
  - .agpr_count:     0
    .args:
      - .address_space:  global
        .offset:         0
        .size:           8
        .value_kind:     global_buffer
      - .address_space:  global
        .offset:         8
        .size:           8
        .value_kind:     global_buffer
      - .address_space:  global
        .offset:         16
        .size:           8
        .value_kind:     global_buffer
    .group_segment_fixed_size: 4224
    .kernarg_segment_align: 8
    .kernarg_segment_size: 24
    .language:       OpenCL C
    .language_version:
      - 2
      - 0
    .max_flat_workgroup_size: 256
    .name:           _Z6kernelI18blocked_to_stripedxLj256ELj2ELj100EEvPKT0_PKjPS1_
    .private_segment_fixed_size: 0
    .sgpr_count:     11
    .sgpr_spill_count: 0
    .symbol:         _Z6kernelI18blocked_to_stripedxLj256ELj2ELj100EEvPKT0_PKjPS1_.kd
    .uniform_work_group_size: 1
    .uses_dynamic_stack: false
    .vgpr_count:     8
    .vgpr_spill_count: 0
    .wavefront_size: 64
  - .agpr_count:     0
    .args:
      - .address_space:  global
        .offset:         0
        .size:           8
        .value_kind:     global_buffer
      - .address_space:  global
        .offset:         8
        .size:           8
        .value_kind:     global_buffer
      - .address_space:  global
        .offset:         16
        .size:           8
        .value_kind:     global_buffer
    .group_segment_fixed_size: 6144
    .kernarg_segment_align: 8
    .kernarg_segment_size: 24
    .language:       OpenCL C
    .language_version:
      - 2
      - 0
    .max_flat_workgroup_size: 256
    .name:           _Z6kernelI18blocked_to_stripedxLj256ELj3ELj100EEvPKT0_PKjPS1_
    .private_segment_fixed_size: 0
    .sgpr_count:     11
    .sgpr_spill_count: 0
    .symbol:         _Z6kernelI18blocked_to_stripedxLj256ELj3ELj100EEvPKT0_PKjPS1_.kd
    .uniform_work_group_size: 1
    .uses_dynamic_stack: false
    .vgpr_count:     9
    .vgpr_spill_count: 0
    .wavefront_size: 64
  - .agpr_count:     0
    .args:
      - .address_space:  global
        .offset:         0
        .size:           8
        .value_kind:     global_buffer
      - .address_space:  global
        .offset:         8
        .size:           8
        .value_kind:     global_buffer
      - .address_space:  global
        .offset:         16
        .size:           8
        .value_kind:     global_buffer
    .group_segment_fixed_size: 8448
    .kernarg_segment_align: 8
    .kernarg_segment_size: 24
    .language:       OpenCL C
    .language_version:
      - 2
      - 0
    .max_flat_workgroup_size: 256
    .name:           _Z6kernelI18blocked_to_stripedxLj256ELj4ELj100EEvPKT0_PKjPS1_
    .private_segment_fixed_size: 0
    .sgpr_count:     11
    .sgpr_spill_count: 0
    .symbol:         _Z6kernelI18blocked_to_stripedxLj256ELj4ELj100EEvPKT0_PKjPS1_.kd
    .uniform_work_group_size: 1
    .uses_dynamic_stack: false
    .vgpr_count:     14
    .vgpr_spill_count: 0
    .wavefront_size: 64
  - .agpr_count:     0
    .args:
      - .address_space:  global
        .offset:         0
        .size:           8
        .value_kind:     global_buffer
      - .address_space:  global
        .offset:         8
        .size:           8
        .value_kind:     global_buffer
      - .address_space:  global
        .offset:         16
        .size:           8
        .value_kind:     global_buffer
    .group_segment_fixed_size: 14336
    .kernarg_segment_align: 8
    .kernarg_segment_size: 24
    .language:       OpenCL C
    .language_version:
      - 2
      - 0
    .max_flat_workgroup_size: 256
    .name:           _Z6kernelI18blocked_to_stripedxLj256ELj7ELj100EEvPKT0_PKjPS1_
    .private_segment_fixed_size: 0
    .sgpr_count:     11
    .sgpr_spill_count: 0
    .symbol:         _Z6kernelI18blocked_to_stripedxLj256ELj7ELj100EEvPKT0_PKjPS1_.kd
    .uniform_work_group_size: 1
    .uses_dynamic_stack: false
    .vgpr_count:     18
    .vgpr_spill_count: 0
    .wavefront_size: 64
  - .agpr_count:     0
    .args:
      - .address_space:  global
        .offset:         0
        .size:           8
        .value_kind:     global_buffer
      - .address_space:  global
        .offset:         8
        .size:           8
        .value_kind:     global_buffer
      - .address_space:  global
        .offset:         16
        .size:           8
        .value_kind:     global_buffer
    .group_segment_fixed_size: 16896
    .kernarg_segment_align: 8
    .kernarg_segment_size: 24
    .language:       OpenCL C
    .language_version:
      - 2
      - 0
    .max_flat_workgroup_size: 256
    .name:           _Z6kernelI18blocked_to_stripedxLj256ELj8ELj100EEvPKT0_PKjPS1_
    .private_segment_fixed_size: 0
    .sgpr_count:     11
    .sgpr_spill_count: 0
    .symbol:         _Z6kernelI18blocked_to_stripedxLj256ELj8ELj100EEvPKT0_PKjPS1_.kd
    .uniform_work_group_size: 1
    .uses_dynamic_stack: false
    .vgpr_count:     26
    .vgpr_spill_count: 0
    .wavefront_size: 64
  - .agpr_count:     0
    .args:
      - .address_space:  global
        .offset:         0
        .size:           8
        .value_kind:     global_buffer
      - .address_space:  global
        .offset:         8
        .size:           8
        .value_kind:     global_buffer
      - .address_space:  global
        .offset:         16
        .size:           8
        .value_kind:     global_buffer
    .group_segment_fixed_size: 2048
    .kernarg_segment_align: 8
    .kernarg_segment_size: 24
    .language:       OpenCL C
    .language_version:
      - 2
      - 0
    .max_flat_workgroup_size: 256
    .name:           _Z6kernelI18blocked_to_stripedN15benchmark_utils11custom_typeIffEELj256ELj1ELj100EEvPKT0_PKjPS4_
    .private_segment_fixed_size: 0
    .sgpr_count:     11
    .sgpr_spill_count: 0
    .symbol:         _Z6kernelI18blocked_to_stripedN15benchmark_utils11custom_typeIffEELj256ELj1ELj100EEvPKT0_PKjPS4_.kd
    .uniform_work_group_size: 1
    .uses_dynamic_stack: false
    .vgpr_count:     4
    .vgpr_spill_count: 0
    .wavefront_size: 64
  - .agpr_count:     0
    .args:
      - .address_space:  global
        .offset:         0
        .size:           8
        .value_kind:     global_buffer
      - .address_space:  global
        .offset:         8
        .size:           8
        .value_kind:     global_buffer
      - .address_space:  global
        .offset:         16
        .size:           8
        .value_kind:     global_buffer
    .group_segment_fixed_size: 4224
    .kernarg_segment_align: 8
    .kernarg_segment_size: 24
    .language:       OpenCL C
    .language_version:
      - 2
      - 0
    .max_flat_workgroup_size: 256
    .name:           _Z6kernelI18blocked_to_stripedN15benchmark_utils11custom_typeIffEELj256ELj2ELj100EEvPKT0_PKjPS4_
    .private_segment_fixed_size: 0
    .sgpr_count:     11
    .sgpr_spill_count: 0
    .symbol:         _Z6kernelI18blocked_to_stripedN15benchmark_utils11custom_typeIffEELj256ELj2ELj100EEvPKT0_PKjPS4_.kd
    .uniform_work_group_size: 1
    .uses_dynamic_stack: false
    .vgpr_count:     8
    .vgpr_spill_count: 0
    .wavefront_size: 64
  - .agpr_count:     0
    .args:
      - .address_space:  global
        .offset:         0
        .size:           8
        .value_kind:     global_buffer
      - .address_space:  global
        .offset:         8
        .size:           8
        .value_kind:     global_buffer
      - .address_space:  global
        .offset:         16
        .size:           8
        .value_kind:     global_buffer
    .group_segment_fixed_size: 6144
    .kernarg_segment_align: 8
    .kernarg_segment_size: 24
    .language:       OpenCL C
    .language_version:
      - 2
      - 0
    .max_flat_workgroup_size: 256
    .name:           _Z6kernelI18blocked_to_stripedN15benchmark_utils11custom_typeIffEELj256ELj3ELj100EEvPKT0_PKjPS4_
    .private_segment_fixed_size: 0
    .sgpr_count:     11
    .sgpr_spill_count: 0
    .symbol:         _Z6kernelI18blocked_to_stripedN15benchmark_utils11custom_typeIffEELj256ELj3ELj100EEvPKT0_PKjPS4_.kd
    .uniform_work_group_size: 1
    .uses_dynamic_stack: false
    .vgpr_count:     9
    .vgpr_spill_count: 0
    .wavefront_size: 64
  - .agpr_count:     0
    .args:
      - .address_space:  global
        .offset:         0
        .size:           8
        .value_kind:     global_buffer
      - .address_space:  global
        .offset:         8
        .size:           8
        .value_kind:     global_buffer
      - .address_space:  global
        .offset:         16
        .size:           8
        .value_kind:     global_buffer
    .group_segment_fixed_size: 8448
    .kernarg_segment_align: 8
    .kernarg_segment_size: 24
    .language:       OpenCL C
    .language_version:
      - 2
      - 0
    .max_flat_workgroup_size: 256
    .name:           _Z6kernelI18blocked_to_stripedN15benchmark_utils11custom_typeIffEELj256ELj4ELj100EEvPKT0_PKjPS4_
    .private_segment_fixed_size: 0
    .sgpr_count:     11
    .sgpr_spill_count: 0
    .symbol:         _Z6kernelI18blocked_to_stripedN15benchmark_utils11custom_typeIffEELj256ELj4ELj100EEvPKT0_PKjPS4_.kd
    .uniform_work_group_size: 1
    .uses_dynamic_stack: false
    .vgpr_count:     14
    .vgpr_spill_count: 0
    .wavefront_size: 64
  - .agpr_count:     0
    .args:
      - .address_space:  global
        .offset:         0
        .size:           8
        .value_kind:     global_buffer
      - .address_space:  global
        .offset:         8
        .size:           8
        .value_kind:     global_buffer
      - .address_space:  global
        .offset:         16
        .size:           8
        .value_kind:     global_buffer
    .group_segment_fixed_size: 14336
    .kernarg_segment_align: 8
    .kernarg_segment_size: 24
    .language:       OpenCL C
    .language_version:
      - 2
      - 0
    .max_flat_workgroup_size: 256
    .name:           _Z6kernelI18blocked_to_stripedN15benchmark_utils11custom_typeIffEELj256ELj7ELj100EEvPKT0_PKjPS4_
    .private_segment_fixed_size: 0
    .sgpr_count:     11
    .sgpr_spill_count: 0
    .symbol:         _Z6kernelI18blocked_to_stripedN15benchmark_utils11custom_typeIffEELj256ELj7ELj100EEvPKT0_PKjPS4_.kd
    .uniform_work_group_size: 1
    .uses_dynamic_stack: false
    .vgpr_count:     18
    .vgpr_spill_count: 0
    .wavefront_size: 64
  - .agpr_count:     0
    .args:
      - .address_space:  global
        .offset:         0
        .size:           8
        .value_kind:     global_buffer
      - .address_space:  global
        .offset:         8
        .size:           8
        .value_kind:     global_buffer
      - .address_space:  global
        .offset:         16
        .size:           8
        .value_kind:     global_buffer
    .group_segment_fixed_size: 16896
    .kernarg_segment_align: 8
    .kernarg_segment_size: 24
    .language:       OpenCL C
    .language_version:
      - 2
      - 0
    .max_flat_workgroup_size: 256
    .name:           _Z6kernelI18blocked_to_stripedN15benchmark_utils11custom_typeIffEELj256ELj8ELj100EEvPKT0_PKjPS4_
    .private_segment_fixed_size: 0
    .sgpr_count:     11
    .sgpr_spill_count: 0
    .symbol:         _Z6kernelI18blocked_to_stripedN15benchmark_utils11custom_typeIffEELj256ELj8ELj100EEvPKT0_PKjPS4_.kd
    .uniform_work_group_size: 1
    .uses_dynamic_stack: false
    .vgpr_count:     26
    .vgpr_spill_count: 0
    .wavefront_size: 64
  - .agpr_count:     0
    .args:
      - .address_space:  global
        .offset:         0
        .size:           8
        .value_kind:     global_buffer
      - .address_space:  global
        .offset:         8
        .size:           8
        .value_kind:     global_buffer
      - .address_space:  global
        .offset:         16
        .size:           8
        .value_kind:     global_buffer
    .group_segment_fixed_size: 4096
    .kernarg_segment_align: 8
    .kernarg_segment_size: 24
    .language:       OpenCL C
    .language_version:
      - 2
      - 0
    .max_flat_workgroup_size: 256
    .name:           _Z6kernelI18blocked_to_stripedN15benchmark_utils11custom_typeIddEELj256ELj1ELj100EEvPKT0_PKjPS4_
    .private_segment_fixed_size: 0
    .sgpr_count:     11
    .sgpr_spill_count: 0
    .symbol:         _Z6kernelI18blocked_to_stripedN15benchmark_utils11custom_typeIddEELj256ELj1ELj100EEvPKT0_PKjPS4_.kd
    .uniform_work_group_size: 1
    .uses_dynamic_stack: false
    .vgpr_count:     6
    .vgpr_spill_count: 0
    .wavefront_size: 64
  - .agpr_count:     0
    .args:
      - .address_space:  global
        .offset:         0
        .size:           8
        .value_kind:     global_buffer
      - .address_space:  global
        .offset:         8
        .size:           8
        .value_kind:     global_buffer
      - .address_space:  global
        .offset:         16
        .size:           8
        .value_kind:     global_buffer
    .group_segment_fixed_size: 8448
    .kernarg_segment_align: 8
    .kernarg_segment_size: 24
    .language:       OpenCL C
    .language_version:
      - 2
      - 0
    .max_flat_workgroup_size: 256
    .name:           _Z6kernelI18blocked_to_stripedN15benchmark_utils11custom_typeIddEELj256ELj2ELj100EEvPKT0_PKjPS4_
    .private_segment_fixed_size: 0
    .sgpr_count:     11
    .sgpr_spill_count: 0
    .symbol:         _Z6kernelI18blocked_to_stripedN15benchmark_utils11custom_typeIddEELj256ELj2ELj100EEvPKT0_PKjPS4_.kd
    .uniform_work_group_size: 1
    .uses_dynamic_stack: false
    .vgpr_count:     12
    .vgpr_spill_count: 0
    .wavefront_size: 64
  - .agpr_count:     0
    .args:
      - .address_space:  global
        .offset:         0
        .size:           8
        .value_kind:     global_buffer
      - .address_space:  global
        .offset:         8
        .size:           8
        .value_kind:     global_buffer
      - .address_space:  global
        .offset:         16
        .size:           8
        .value_kind:     global_buffer
    .group_segment_fixed_size: 12288
    .kernarg_segment_align: 8
    .kernarg_segment_size: 24
    .language:       OpenCL C
    .language_version:
      - 2
      - 0
    .max_flat_workgroup_size: 256
    .name:           _Z6kernelI18blocked_to_stripedN15benchmark_utils11custom_typeIddEELj256ELj3ELj100EEvPKT0_PKjPS4_
    .private_segment_fixed_size: 0
    .sgpr_count:     11
    .sgpr_spill_count: 0
    .symbol:         _Z6kernelI18blocked_to_stripedN15benchmark_utils11custom_typeIddEELj256ELj3ELj100EEvPKT0_PKjPS4_.kd
    .uniform_work_group_size: 1
    .uses_dynamic_stack: false
    .vgpr_count:     16
    .vgpr_spill_count: 0
    .wavefront_size: 64
  - .agpr_count:     0
    .args:
      - .address_space:  global
        .offset:         0
        .size:           8
        .value_kind:     global_buffer
      - .address_space:  global
        .offset:         8
        .size:           8
        .value_kind:     global_buffer
      - .address_space:  global
        .offset:         16
        .size:           8
        .value_kind:     global_buffer
    .group_segment_fixed_size: 16896
    .kernarg_segment_align: 8
    .kernarg_segment_size: 24
    .language:       OpenCL C
    .language_version:
      - 2
      - 0
    .max_flat_workgroup_size: 256
    .name:           _Z6kernelI18blocked_to_stripedN15benchmark_utils11custom_typeIddEELj256ELj4ELj100EEvPKT0_PKjPS4_
    .private_segment_fixed_size: 0
    .sgpr_count:     11
    .sgpr_spill_count: 0
    .symbol:         _Z6kernelI18blocked_to_stripedN15benchmark_utils11custom_typeIddEELj256ELj4ELj100EEvPKT0_PKjPS4_.kd
    .uniform_work_group_size: 1
    .uses_dynamic_stack: false
    .vgpr_count:     22
    .vgpr_spill_count: 0
    .wavefront_size: 64
  - .agpr_count:     0
    .args:
      - .address_space:  global
        .offset:         0
        .size:           8
        .value_kind:     global_buffer
      - .address_space:  global
        .offset:         8
        .size:           8
        .value_kind:     global_buffer
      - .address_space:  global
        .offset:         16
        .size:           8
        .value_kind:     global_buffer
    .group_segment_fixed_size: 28672
    .kernarg_segment_align: 8
    .kernarg_segment_size: 24
    .language:       OpenCL C
    .language_version:
      - 2
      - 0
    .max_flat_workgroup_size: 256
    .name:           _Z6kernelI18blocked_to_stripedN15benchmark_utils11custom_typeIddEELj256ELj7ELj100EEvPKT0_PKjPS4_
    .private_segment_fixed_size: 0
    .sgpr_count:     11
    .sgpr_spill_count: 0
    .symbol:         _Z6kernelI18blocked_to_stripedN15benchmark_utils11custom_typeIddEELj256ELj7ELj100EEvPKT0_PKjPS4_.kd
    .uniform_work_group_size: 1
    .uses_dynamic_stack: false
    .vgpr_count:     32
    .vgpr_spill_count: 0
    .wavefront_size: 64
  - .agpr_count:     0
    .args:
      - .address_space:  global
        .offset:         0
        .size:           8
        .value_kind:     global_buffer
      - .address_space:  global
        .offset:         8
        .size:           8
        .value_kind:     global_buffer
      - .address_space:  global
        .offset:         16
        .size:           8
        .value_kind:     global_buffer
    .group_segment_fixed_size: 33792
    .kernarg_segment_align: 8
    .kernarg_segment_size: 24
    .language:       OpenCL C
    .language_version:
      - 2
      - 0
    .max_flat_workgroup_size: 256
    .name:           _Z6kernelI18blocked_to_stripedN15benchmark_utils11custom_typeIddEELj256ELj8ELj100EEvPKT0_PKjPS4_
    .private_segment_fixed_size: 0
    .sgpr_count:     11
    .sgpr_spill_count: 0
    .symbol:         _Z6kernelI18blocked_to_stripedN15benchmark_utils11custom_typeIddEELj256ELj8ELj100EEvPKT0_PKjPS4_.kd
    .uniform_work_group_size: 1
    .uses_dynamic_stack: false
    .vgpr_count:     42
    .vgpr_spill_count: 0
    .wavefront_size: 64
  - .agpr_count:     0
    .args:
      - .address_space:  global
        .offset:         0
        .size:           8
        .value_kind:     global_buffer
      - .address_space:  global
        .offset:         8
        .size:           8
        .value_kind:     global_buffer
      - .address_space:  global
        .offset:         16
        .size:           8
        .value_kind:     global_buffer
    .group_segment_fixed_size: 1024
    .kernarg_segment_align: 8
    .kernarg_segment_size: 24
    .language:       OpenCL C
    .language_version:
      - 2
      - 0
    .max_flat_workgroup_size: 256
    .name:           _Z6kernelI18striped_to_blockediLj256ELj1ELj100EEvPKT0_PKjPS1_
    .private_segment_fixed_size: 0
    .sgpr_count:     11
    .sgpr_spill_count: 0
    .symbol:         _Z6kernelI18striped_to_blockediLj256ELj1ELj100EEvPKT0_PKjPS1_.kd
    .uniform_work_group_size: 1
    .uses_dynamic_stack: false
    .vgpr_count:     3
    .vgpr_spill_count: 0
    .wavefront_size: 64
  - .agpr_count:     0
    .args:
      - .address_space:  global
        .offset:         0
        .size:           8
        .value_kind:     global_buffer
      - .address_space:  global
        .offset:         8
        .size:           8
        .value_kind:     global_buffer
      - .address_space:  global
        .offset:         16
        .size:           8
        .value_kind:     global_buffer
    .group_segment_fixed_size: 2112
    .kernarg_segment_align: 8
    .kernarg_segment_size: 24
    .language:       OpenCL C
    .language_version:
      - 2
      - 0
    .max_flat_workgroup_size: 256
    .name:           _Z6kernelI18striped_to_blockediLj256ELj2ELj100EEvPKT0_PKjPS1_
    .private_segment_fixed_size: 0
    .sgpr_count:     11
    .sgpr_spill_count: 0
    .symbol:         _Z6kernelI18striped_to_blockediLj256ELj2ELj100EEvPKT0_PKjPS1_.kd
    .uniform_work_group_size: 1
    .uses_dynamic_stack: false
    .vgpr_count:     6
    .vgpr_spill_count: 0
    .wavefront_size: 64
  - .agpr_count:     0
    .args:
      - .address_space:  global
        .offset:         0
        .size:           8
        .value_kind:     global_buffer
      - .address_space:  global
        .offset:         8
        .size:           8
        .value_kind:     global_buffer
      - .address_space:  global
        .offset:         16
        .size:           8
        .value_kind:     global_buffer
    .group_segment_fixed_size: 3072
    .kernarg_segment_align: 8
    .kernarg_segment_size: 24
    .language:       OpenCL C
    .language_version:
      - 2
      - 0
    .max_flat_workgroup_size: 256
    .name:           _Z6kernelI18striped_to_blockediLj256ELj3ELj100EEvPKT0_PKjPS1_
    .private_segment_fixed_size: 0
    .sgpr_count:     11
    .sgpr_spill_count: 0
    .symbol:         _Z6kernelI18striped_to_blockediLj256ELj3ELj100EEvPKT0_PKjPS1_.kd
    .uniform_work_group_size: 1
    .uses_dynamic_stack: false
    .vgpr_count:     6
    .vgpr_spill_count: 0
    .wavefront_size: 64
  - .agpr_count:     0
    .args:
      - .address_space:  global
        .offset:         0
        .size:           8
        .value_kind:     global_buffer
      - .address_space:  global
        .offset:         8
        .size:           8
        .value_kind:     global_buffer
      - .address_space:  global
        .offset:         16
        .size:           8
        .value_kind:     global_buffer
    .group_segment_fixed_size: 4224
    .kernarg_segment_align: 8
    .kernarg_segment_size: 24
    .language:       OpenCL C
    .language_version:
      - 2
      - 0
    .max_flat_workgroup_size: 256
    .name:           _Z6kernelI18striped_to_blockediLj256ELj4ELj100EEvPKT0_PKjPS1_
    .private_segment_fixed_size: 0
    .sgpr_count:     11
    .sgpr_spill_count: 0
    .symbol:         _Z6kernelI18striped_to_blockediLj256ELj4ELj100EEvPKT0_PKjPS1_.kd
    .uniform_work_group_size: 1
    .uses_dynamic_stack: false
    .vgpr_count:     10
    .vgpr_spill_count: 0
    .wavefront_size: 64
  - .agpr_count:     0
    .args:
      - .address_space:  global
        .offset:         0
        .size:           8
        .value_kind:     global_buffer
      - .address_space:  global
        .offset:         8
        .size:           8
        .value_kind:     global_buffer
      - .address_space:  global
        .offset:         16
        .size:           8
        .value_kind:     global_buffer
    .group_segment_fixed_size: 7168
    .kernarg_segment_align: 8
    .kernarg_segment_size: 24
    .language:       OpenCL C
    .language_version:
      - 2
      - 0
    .max_flat_workgroup_size: 256
    .name:           _Z6kernelI18striped_to_blockediLj256ELj7ELj100EEvPKT0_PKjPS1_
    .private_segment_fixed_size: 0
    .sgpr_count:     11
    .sgpr_spill_count: 0
    .symbol:         _Z6kernelI18striped_to_blockediLj256ELj7ELj100EEvPKT0_PKjPS1_.kd
    .uniform_work_group_size: 1
    .uses_dynamic_stack: false
    .vgpr_count:     12
    .vgpr_spill_count: 0
    .wavefront_size: 64
  - .agpr_count:     0
    .args:
      - .address_space:  global
        .offset:         0
        .size:           8
        .value_kind:     global_buffer
      - .address_space:  global
        .offset:         8
        .size:           8
        .value_kind:     global_buffer
      - .address_space:  global
        .offset:         16
        .size:           8
        .value_kind:     global_buffer
    .group_segment_fixed_size: 8448
    .kernarg_segment_align: 8
    .kernarg_segment_size: 24
    .language:       OpenCL C
    .language_version:
      - 2
      - 0
    .max_flat_workgroup_size: 256
    .name:           _Z6kernelI18striped_to_blockediLj256ELj8ELj100EEvPKT0_PKjPS1_
    .private_segment_fixed_size: 0
    .sgpr_count:     11
    .sgpr_spill_count: 0
    .symbol:         _Z6kernelI18striped_to_blockediLj256ELj8ELj100EEvPKT0_PKjPS1_.kd
    .uniform_work_group_size: 1
    .uses_dynamic_stack: false
    .vgpr_count:     18
    .vgpr_spill_count: 0
    .wavefront_size: 64
  - .agpr_count:     0
    .args:
      - .address_space:  global
        .offset:         0
        .size:           8
        .value_kind:     global_buffer
      - .address_space:  global
        .offset:         8
        .size:           8
        .value_kind:     global_buffer
      - .address_space:  global
        .offset:         16
        .size:           8
        .value_kind:     global_buffer
    .group_segment_fixed_size: 256
    .kernarg_segment_align: 8
    .kernarg_segment_size: 24
    .language:       OpenCL C
    .language_version:
      - 2
      - 0
    .max_flat_workgroup_size: 256
    .name:           _Z6kernelI18striped_to_blockedaLj256ELj1ELj100EEvPKT0_PKjPS1_
    .private_segment_fixed_size: 0
    .sgpr_count:     11
    .sgpr_spill_count: 0
    .symbol:         _Z6kernelI18striped_to_blockedaLj256ELj1ELj100EEvPKT0_PKjPS1_.kd
    .uniform_work_group_size: 1
    .uses_dynamic_stack: false
    .vgpr_count:     4
    .vgpr_spill_count: 0
    .wavefront_size: 64
  - .agpr_count:     0
    .args:
      - .address_space:  global
        .offset:         0
        .size:           8
        .value_kind:     global_buffer
      - .address_space:  global
        .offset:         8
        .size:           8
        .value_kind:     global_buffer
      - .address_space:  global
        .offset:         16
        .size:           8
        .value_kind:     global_buffer
    .group_segment_fixed_size: 528
    .kernarg_segment_align: 8
    .kernarg_segment_size: 24
    .language:       OpenCL C
    .language_version:
      - 2
      - 0
    .max_flat_workgroup_size: 256
    .name:           _Z6kernelI18striped_to_blockedaLj256ELj2ELj100EEvPKT0_PKjPS1_
    .private_segment_fixed_size: 0
    .sgpr_count:     11
    .sgpr_spill_count: 0
    .symbol:         _Z6kernelI18striped_to_blockedaLj256ELj2ELj100EEvPKT0_PKjPS1_.kd
    .uniform_work_group_size: 1
    .uses_dynamic_stack: false
    .vgpr_count:     8
    .vgpr_spill_count: 0
    .wavefront_size: 64
  - .agpr_count:     0
    .args:
      - .address_space:  global
        .offset:         0
        .size:           8
        .value_kind:     global_buffer
      - .address_space:  global
        .offset:         8
        .size:           8
        .value_kind:     global_buffer
      - .address_space:  global
        .offset:         16
        .size:           8
        .value_kind:     global_buffer
    .group_segment_fixed_size: 768
    .kernarg_segment_align: 8
    .kernarg_segment_size: 24
    .language:       OpenCL C
    .language_version:
      - 2
      - 0
    .max_flat_workgroup_size: 256
    .name:           _Z6kernelI18striped_to_blockedaLj256ELj3ELj100EEvPKT0_PKjPS1_
    .private_segment_fixed_size: 0
    .sgpr_count:     11
    .sgpr_spill_count: 0
    .symbol:         _Z6kernelI18striped_to_blockedaLj256ELj3ELj100EEvPKT0_PKjPS1_.kd
    .uniform_work_group_size: 1
    .uses_dynamic_stack: false
    .vgpr_count:     6
    .vgpr_spill_count: 0
    .wavefront_size: 64
  - .agpr_count:     0
    .args:
      - .address_space:  global
        .offset:         0
        .size:           8
        .value_kind:     global_buffer
      - .address_space:  global
        .offset:         8
        .size:           8
        .value_kind:     global_buffer
      - .address_space:  global
        .offset:         16
        .size:           8
        .value_kind:     global_buffer
    .group_segment_fixed_size: 1056
    .kernarg_segment_align: 8
    .kernarg_segment_size: 24
    .language:       OpenCL C
    .language_version:
      - 2
      - 0
    .max_flat_workgroup_size: 256
    .name:           _Z6kernelI18striped_to_blockedaLj256ELj4ELj100EEvPKT0_PKjPS1_
    .private_segment_fixed_size: 0
    .sgpr_count:     11
    .sgpr_spill_count: 0
    .symbol:         _Z6kernelI18striped_to_blockedaLj256ELj4ELj100EEvPKT0_PKjPS1_.kd
    .uniform_work_group_size: 1
    .uses_dynamic_stack: false
    .vgpr_count:     14
    .vgpr_spill_count: 0
    .wavefront_size: 64
  - .agpr_count:     0
    .args:
      - .address_space:  global
        .offset:         0
        .size:           8
        .value_kind:     global_buffer
      - .address_space:  global
        .offset:         8
        .size:           8
        .value_kind:     global_buffer
      - .address_space:  global
        .offset:         16
        .size:           8
        .value_kind:     global_buffer
    .group_segment_fixed_size: 1792
    .kernarg_segment_align: 8
    .kernarg_segment_size: 24
    .language:       OpenCL C
    .language_version:
      - 2
      - 0
    .max_flat_workgroup_size: 256
    .name:           _Z6kernelI18striped_to_blockedaLj256ELj7ELj100EEvPKT0_PKjPS1_
    .private_segment_fixed_size: 0
    .sgpr_count:     11
    .sgpr_spill_count: 0
    .symbol:         _Z6kernelI18striped_to_blockedaLj256ELj7ELj100EEvPKT0_PKjPS1_.kd
    .uniform_work_group_size: 1
    .uses_dynamic_stack: false
    .vgpr_count:     9
    .vgpr_spill_count: 0
    .wavefront_size: 64
  - .agpr_count:     0
    .args:
      - .address_space:  global
        .offset:         0
        .size:           8
        .value_kind:     global_buffer
      - .address_space:  global
        .offset:         8
        .size:           8
        .value_kind:     global_buffer
      - .address_space:  global
        .offset:         16
        .size:           8
        .value_kind:     global_buffer
    .group_segment_fixed_size: 2112
    .kernarg_segment_align: 8
    .kernarg_segment_size: 24
    .language:       OpenCL C
    .language_version:
      - 2
      - 0
    .max_flat_workgroup_size: 256
    .name:           _Z6kernelI18striped_to_blockedaLj256ELj8ELj100EEvPKT0_PKjPS1_
    .private_segment_fixed_size: 0
    .sgpr_count:     11
    .sgpr_spill_count: 0
    .symbol:         _Z6kernelI18striped_to_blockedaLj256ELj8ELj100EEvPKT0_PKjPS1_.kd
    .uniform_work_group_size: 1
    .uses_dynamic_stack: false
    .vgpr_count:     26
    .vgpr_spill_count: 0
    .wavefront_size: 64
  - .agpr_count:     0
    .args:
      - .address_space:  global
        .offset:         0
        .size:           8
        .value_kind:     global_buffer
      - .address_space:  global
        .offset:         8
        .size:           8
        .value_kind:     global_buffer
      - .address_space:  global
        .offset:         16
        .size:           8
        .value_kind:     global_buffer
    .group_segment_fixed_size: 2048
    .kernarg_segment_align: 8
    .kernarg_segment_size: 24
    .language:       OpenCL C
    .language_version:
      - 2
      - 0
    .max_flat_workgroup_size: 256
    .name:           _Z6kernelI18striped_to_blockedxLj256ELj1ELj100EEvPKT0_PKjPS1_
    .private_segment_fixed_size: 0
    .sgpr_count:     11
    .sgpr_spill_count: 0
    .symbol:         _Z6kernelI18striped_to_blockedxLj256ELj1ELj100EEvPKT0_PKjPS1_.kd
    .uniform_work_group_size: 1
    .uses_dynamic_stack: false
    .vgpr_count:     4
    .vgpr_spill_count: 0
    .wavefront_size: 64
  - .agpr_count:     0
    .args:
      - .address_space:  global
        .offset:         0
        .size:           8
        .value_kind:     global_buffer
      - .address_space:  global
        .offset:         8
        .size:           8
        .value_kind:     global_buffer
      - .address_space:  global
        .offset:         16
        .size:           8
        .value_kind:     global_buffer
    .group_segment_fixed_size: 4224
    .kernarg_segment_align: 8
    .kernarg_segment_size: 24
    .language:       OpenCL C
    .language_version:
      - 2
      - 0
    .max_flat_workgroup_size: 256
    .name:           _Z6kernelI18striped_to_blockedxLj256ELj2ELj100EEvPKT0_PKjPS1_
    .private_segment_fixed_size: 0
    .sgpr_count:     11
    .sgpr_spill_count: 0
    .symbol:         _Z6kernelI18striped_to_blockedxLj256ELj2ELj100EEvPKT0_PKjPS1_.kd
    .uniform_work_group_size: 1
    .uses_dynamic_stack: false
    .vgpr_count:     8
    .vgpr_spill_count: 0
    .wavefront_size: 64
  - .agpr_count:     0
    .args:
      - .address_space:  global
        .offset:         0
        .size:           8
        .value_kind:     global_buffer
      - .address_space:  global
        .offset:         8
        .size:           8
        .value_kind:     global_buffer
      - .address_space:  global
        .offset:         16
        .size:           8
        .value_kind:     global_buffer
    .group_segment_fixed_size: 6144
    .kernarg_segment_align: 8
    .kernarg_segment_size: 24
    .language:       OpenCL C
    .language_version:
      - 2
      - 0
    .max_flat_workgroup_size: 256
    .name:           _Z6kernelI18striped_to_blockedxLj256ELj3ELj100EEvPKT0_PKjPS1_
    .private_segment_fixed_size: 0
    .sgpr_count:     11
    .sgpr_spill_count: 0
    .symbol:         _Z6kernelI18striped_to_blockedxLj256ELj3ELj100EEvPKT0_PKjPS1_.kd
    .uniform_work_group_size: 1
    .uses_dynamic_stack: false
    .vgpr_count:     10
    .vgpr_spill_count: 0
    .wavefront_size: 64
  - .agpr_count:     0
    .args:
      - .address_space:  global
        .offset:         0
        .size:           8
        .value_kind:     global_buffer
      - .address_space:  global
        .offset:         8
        .size:           8
        .value_kind:     global_buffer
      - .address_space:  global
        .offset:         16
        .size:           8
        .value_kind:     global_buffer
    .group_segment_fixed_size: 8448
    .kernarg_segment_align: 8
    .kernarg_segment_size: 24
    .language:       OpenCL C
    .language_version:
      - 2
      - 0
    .max_flat_workgroup_size: 256
    .name:           _Z6kernelI18striped_to_blockedxLj256ELj4ELj100EEvPKT0_PKjPS1_
    .private_segment_fixed_size: 0
    .sgpr_count:     11
    .sgpr_spill_count: 0
    .symbol:         _Z6kernelI18striped_to_blockedxLj256ELj4ELj100EEvPKT0_PKjPS1_.kd
    .uniform_work_group_size: 1
    .uses_dynamic_stack: false
    .vgpr_count:     14
    .vgpr_spill_count: 0
    .wavefront_size: 64
  - .agpr_count:     0
    .args:
      - .address_space:  global
        .offset:         0
        .size:           8
        .value_kind:     global_buffer
      - .address_space:  global
        .offset:         8
        .size:           8
        .value_kind:     global_buffer
      - .address_space:  global
        .offset:         16
        .size:           8
        .value_kind:     global_buffer
    .group_segment_fixed_size: 14336
    .kernarg_segment_align: 8
    .kernarg_segment_size: 24
    .language:       OpenCL C
    .language_version:
      - 2
      - 0
    .max_flat_workgroup_size: 256
    .name:           _Z6kernelI18striped_to_blockedxLj256ELj7ELj100EEvPKT0_PKjPS1_
    .private_segment_fixed_size: 0
    .sgpr_count:     11
    .sgpr_spill_count: 0
    .symbol:         _Z6kernelI18striped_to_blockedxLj256ELj7ELj100EEvPKT0_PKjPS1_.kd
    .uniform_work_group_size: 1
    .uses_dynamic_stack: false
    .vgpr_count:     20
    .vgpr_spill_count: 0
    .wavefront_size: 64
  - .agpr_count:     0
    .args:
      - .address_space:  global
        .offset:         0
        .size:           8
        .value_kind:     global_buffer
      - .address_space:  global
        .offset:         8
        .size:           8
        .value_kind:     global_buffer
      - .address_space:  global
        .offset:         16
        .size:           8
        .value_kind:     global_buffer
    .group_segment_fixed_size: 16896
    .kernarg_segment_align: 8
    .kernarg_segment_size: 24
    .language:       OpenCL C
    .language_version:
      - 2
      - 0
    .max_flat_workgroup_size: 256
    .name:           _Z6kernelI18striped_to_blockedxLj256ELj8ELj100EEvPKT0_PKjPS1_
    .private_segment_fixed_size: 0
    .sgpr_count:     11
    .sgpr_spill_count: 0
    .symbol:         _Z6kernelI18striped_to_blockedxLj256ELj8ELj100EEvPKT0_PKjPS1_.kd
    .uniform_work_group_size: 1
    .uses_dynamic_stack: false
    .vgpr_count:     26
    .vgpr_spill_count: 0
    .wavefront_size: 64
  - .agpr_count:     0
    .args:
      - .address_space:  global
        .offset:         0
        .size:           8
        .value_kind:     global_buffer
      - .address_space:  global
        .offset:         8
        .size:           8
        .value_kind:     global_buffer
      - .address_space:  global
        .offset:         16
        .size:           8
        .value_kind:     global_buffer
    .group_segment_fixed_size: 2048
    .kernarg_segment_align: 8
    .kernarg_segment_size: 24
    .language:       OpenCL C
    .language_version:
      - 2
      - 0
    .max_flat_workgroup_size: 256
    .name:           _Z6kernelI18striped_to_blockedN15benchmark_utils11custom_typeIffEELj256ELj1ELj100EEvPKT0_PKjPS4_
    .private_segment_fixed_size: 0
    .sgpr_count:     11
    .sgpr_spill_count: 0
    .symbol:         _Z6kernelI18striped_to_blockedN15benchmark_utils11custom_typeIffEELj256ELj1ELj100EEvPKT0_PKjPS4_.kd
    .uniform_work_group_size: 1
    .uses_dynamic_stack: false
    .vgpr_count:     4
    .vgpr_spill_count: 0
    .wavefront_size: 64
  - .agpr_count:     0
    .args:
      - .address_space:  global
        .offset:         0
        .size:           8
        .value_kind:     global_buffer
      - .address_space:  global
        .offset:         8
        .size:           8
        .value_kind:     global_buffer
      - .address_space:  global
        .offset:         16
        .size:           8
        .value_kind:     global_buffer
    .group_segment_fixed_size: 4224
    .kernarg_segment_align: 8
    .kernarg_segment_size: 24
    .language:       OpenCL C
    .language_version:
      - 2
      - 0
    .max_flat_workgroup_size: 256
    .name:           _Z6kernelI18striped_to_blockedN15benchmark_utils11custom_typeIffEELj256ELj2ELj100EEvPKT0_PKjPS4_
    .private_segment_fixed_size: 0
    .sgpr_count:     11
    .sgpr_spill_count: 0
    .symbol:         _Z6kernelI18striped_to_blockedN15benchmark_utils11custom_typeIffEELj256ELj2ELj100EEvPKT0_PKjPS4_.kd
    .uniform_work_group_size: 1
    .uses_dynamic_stack: false
    .vgpr_count:     8
    .vgpr_spill_count: 0
    .wavefront_size: 64
  - .agpr_count:     0
    .args:
      - .address_space:  global
        .offset:         0
        .size:           8
        .value_kind:     global_buffer
      - .address_space:  global
        .offset:         8
        .size:           8
        .value_kind:     global_buffer
      - .address_space:  global
        .offset:         16
        .size:           8
        .value_kind:     global_buffer
    .group_segment_fixed_size: 6144
    .kernarg_segment_align: 8
    .kernarg_segment_size: 24
    .language:       OpenCL C
    .language_version:
      - 2
      - 0
    .max_flat_workgroup_size: 256
    .name:           _Z6kernelI18striped_to_blockedN15benchmark_utils11custom_typeIffEELj256ELj3ELj100EEvPKT0_PKjPS4_
    .private_segment_fixed_size: 0
    .sgpr_count:     11
    .sgpr_spill_count: 0
    .symbol:         _Z6kernelI18striped_to_blockedN15benchmark_utils11custom_typeIffEELj256ELj3ELj100EEvPKT0_PKjPS4_.kd
    .uniform_work_group_size: 1
    .uses_dynamic_stack: false
    .vgpr_count:     10
    .vgpr_spill_count: 0
    .wavefront_size: 64
  - .agpr_count:     0
    .args:
      - .address_space:  global
        .offset:         0
        .size:           8
        .value_kind:     global_buffer
      - .address_space:  global
        .offset:         8
        .size:           8
        .value_kind:     global_buffer
      - .address_space:  global
        .offset:         16
        .size:           8
        .value_kind:     global_buffer
    .group_segment_fixed_size: 8448
    .kernarg_segment_align: 8
    .kernarg_segment_size: 24
    .language:       OpenCL C
    .language_version:
      - 2
      - 0
    .max_flat_workgroup_size: 256
    .name:           _Z6kernelI18striped_to_blockedN15benchmark_utils11custom_typeIffEELj256ELj4ELj100EEvPKT0_PKjPS4_
    .private_segment_fixed_size: 0
    .sgpr_count:     11
    .sgpr_spill_count: 0
    .symbol:         _Z6kernelI18striped_to_blockedN15benchmark_utils11custom_typeIffEELj256ELj4ELj100EEvPKT0_PKjPS4_.kd
    .uniform_work_group_size: 1
    .uses_dynamic_stack: false
    .vgpr_count:     14
    .vgpr_spill_count: 0
    .wavefront_size: 64
  - .agpr_count:     0
    .args:
      - .address_space:  global
        .offset:         0
        .size:           8
        .value_kind:     global_buffer
      - .address_space:  global
        .offset:         8
        .size:           8
        .value_kind:     global_buffer
      - .address_space:  global
        .offset:         16
        .size:           8
        .value_kind:     global_buffer
    .group_segment_fixed_size: 14336
    .kernarg_segment_align: 8
    .kernarg_segment_size: 24
    .language:       OpenCL C
    .language_version:
      - 2
      - 0
    .max_flat_workgroup_size: 256
    .name:           _Z6kernelI18striped_to_blockedN15benchmark_utils11custom_typeIffEELj256ELj7ELj100EEvPKT0_PKjPS4_
    .private_segment_fixed_size: 0
    .sgpr_count:     11
    .sgpr_spill_count: 0
    .symbol:         _Z6kernelI18striped_to_blockedN15benchmark_utils11custom_typeIffEELj256ELj7ELj100EEvPKT0_PKjPS4_.kd
    .uniform_work_group_size: 1
    .uses_dynamic_stack: false
    .vgpr_count:     20
    .vgpr_spill_count: 0
    .wavefront_size: 64
  - .agpr_count:     0
    .args:
      - .address_space:  global
        .offset:         0
        .size:           8
        .value_kind:     global_buffer
      - .address_space:  global
        .offset:         8
        .size:           8
        .value_kind:     global_buffer
      - .address_space:  global
        .offset:         16
        .size:           8
        .value_kind:     global_buffer
    .group_segment_fixed_size: 16896
    .kernarg_segment_align: 8
    .kernarg_segment_size: 24
    .language:       OpenCL C
    .language_version:
      - 2
      - 0
    .max_flat_workgroup_size: 256
    .name:           _Z6kernelI18striped_to_blockedN15benchmark_utils11custom_typeIffEELj256ELj8ELj100EEvPKT0_PKjPS4_
    .private_segment_fixed_size: 0
    .sgpr_count:     11
    .sgpr_spill_count: 0
    .symbol:         _Z6kernelI18striped_to_blockedN15benchmark_utils11custom_typeIffEELj256ELj8ELj100EEvPKT0_PKjPS4_.kd
    .uniform_work_group_size: 1
    .uses_dynamic_stack: false
    .vgpr_count:     26
    .vgpr_spill_count: 0
    .wavefront_size: 64
  - .agpr_count:     0
    .args:
      - .address_space:  global
        .offset:         0
        .size:           8
        .value_kind:     global_buffer
      - .address_space:  global
        .offset:         8
        .size:           8
        .value_kind:     global_buffer
      - .address_space:  global
        .offset:         16
        .size:           8
        .value_kind:     global_buffer
    .group_segment_fixed_size: 4096
    .kernarg_segment_align: 8
    .kernarg_segment_size: 24
    .language:       OpenCL C
    .language_version:
      - 2
      - 0
    .max_flat_workgroup_size: 256
    .name:           _Z6kernelI18striped_to_blockedN15benchmark_utils11custom_typeIddEELj256ELj1ELj100EEvPKT0_PKjPS4_
    .private_segment_fixed_size: 0
    .sgpr_count:     11
    .sgpr_spill_count: 0
    .symbol:         _Z6kernelI18striped_to_blockedN15benchmark_utils11custom_typeIddEELj256ELj1ELj100EEvPKT0_PKjPS4_.kd
    .uniform_work_group_size: 1
    .uses_dynamic_stack: false
    .vgpr_count:     6
    .vgpr_spill_count: 0
    .wavefront_size: 64
  - .agpr_count:     0
    .args:
      - .address_space:  global
        .offset:         0
        .size:           8
        .value_kind:     global_buffer
      - .address_space:  global
        .offset:         8
        .size:           8
        .value_kind:     global_buffer
      - .address_space:  global
        .offset:         16
        .size:           8
        .value_kind:     global_buffer
    .group_segment_fixed_size: 8448
    .kernarg_segment_align: 8
    .kernarg_segment_size: 24
    .language:       OpenCL C
    .language_version:
      - 2
      - 0
    .max_flat_workgroup_size: 256
    .name:           _Z6kernelI18striped_to_blockedN15benchmark_utils11custom_typeIddEELj256ELj2ELj100EEvPKT0_PKjPS4_
    .private_segment_fixed_size: 0
    .sgpr_count:     11
    .sgpr_spill_count: 0
    .symbol:         _Z6kernelI18striped_to_blockedN15benchmark_utils11custom_typeIddEELj256ELj2ELj100EEvPKT0_PKjPS4_.kd
    .uniform_work_group_size: 1
    .uses_dynamic_stack: false
    .vgpr_count:     12
    .vgpr_spill_count: 0
    .wavefront_size: 64
  - .agpr_count:     0
    .args:
      - .address_space:  global
        .offset:         0
        .size:           8
        .value_kind:     global_buffer
      - .address_space:  global
        .offset:         8
        .size:           8
        .value_kind:     global_buffer
      - .address_space:  global
        .offset:         16
        .size:           8
        .value_kind:     global_buffer
    .group_segment_fixed_size: 12288
    .kernarg_segment_align: 8
    .kernarg_segment_size: 24
    .language:       OpenCL C
    .language_version:
      - 2
      - 0
    .max_flat_workgroup_size: 256
    .name:           _Z6kernelI18striped_to_blockedN15benchmark_utils11custom_typeIddEELj256ELj3ELj100EEvPKT0_PKjPS4_
    .private_segment_fixed_size: 0
    .sgpr_count:     11
    .sgpr_spill_count: 0
    .symbol:         _Z6kernelI18striped_to_blockedN15benchmark_utils11custom_typeIddEELj256ELj3ELj100EEvPKT0_PKjPS4_.kd
    .uniform_work_group_size: 1
    .uses_dynamic_stack: false
    .vgpr_count:     16
    .vgpr_spill_count: 0
    .wavefront_size: 64
  - .agpr_count:     0
    .args:
      - .address_space:  global
        .offset:         0
        .size:           8
        .value_kind:     global_buffer
      - .address_space:  global
        .offset:         8
        .size:           8
        .value_kind:     global_buffer
      - .address_space:  global
        .offset:         16
        .size:           8
        .value_kind:     global_buffer
    .group_segment_fixed_size: 16896
    .kernarg_segment_align: 8
    .kernarg_segment_size: 24
    .language:       OpenCL C
    .language_version:
      - 2
      - 0
    .max_flat_workgroup_size: 256
    .name:           _Z6kernelI18striped_to_blockedN15benchmark_utils11custom_typeIddEELj256ELj4ELj100EEvPKT0_PKjPS4_
    .private_segment_fixed_size: 0
    .sgpr_count:     11
    .sgpr_spill_count: 0
    .symbol:         _Z6kernelI18striped_to_blockedN15benchmark_utils11custom_typeIddEELj256ELj4ELj100EEvPKT0_PKjPS4_.kd
    .uniform_work_group_size: 1
    .uses_dynamic_stack: false
    .vgpr_count:     22
    .vgpr_spill_count: 0
    .wavefront_size: 64
  - .agpr_count:     0
    .args:
      - .address_space:  global
        .offset:         0
        .size:           8
        .value_kind:     global_buffer
      - .address_space:  global
        .offset:         8
        .size:           8
        .value_kind:     global_buffer
      - .address_space:  global
        .offset:         16
        .size:           8
        .value_kind:     global_buffer
    .group_segment_fixed_size: 28672
    .kernarg_segment_align: 8
    .kernarg_segment_size: 24
    .language:       OpenCL C
    .language_version:
      - 2
      - 0
    .max_flat_workgroup_size: 256
    .name:           _Z6kernelI18striped_to_blockedN15benchmark_utils11custom_typeIddEELj256ELj7ELj100EEvPKT0_PKjPS4_
    .private_segment_fixed_size: 0
    .sgpr_count:     11
    .sgpr_spill_count: 0
    .symbol:         _Z6kernelI18striped_to_blockedN15benchmark_utils11custom_typeIddEELj256ELj7ELj100EEvPKT0_PKjPS4_.kd
    .uniform_work_group_size: 1
    .uses_dynamic_stack: false
    .vgpr_count:     34
    .vgpr_spill_count: 0
    .wavefront_size: 64
  - .agpr_count:     0
    .args:
      - .address_space:  global
        .offset:         0
        .size:           8
        .value_kind:     global_buffer
      - .address_space:  global
        .offset:         8
        .size:           8
        .value_kind:     global_buffer
      - .address_space:  global
        .offset:         16
        .size:           8
        .value_kind:     global_buffer
    .group_segment_fixed_size: 33792
    .kernarg_segment_align: 8
    .kernarg_segment_size: 24
    .language:       OpenCL C
    .language_version:
      - 2
      - 0
    .max_flat_workgroup_size: 256
    .name:           _Z6kernelI18striped_to_blockedN15benchmark_utils11custom_typeIddEELj256ELj8ELj100EEvPKT0_PKjPS4_
    .private_segment_fixed_size: 0
    .sgpr_count:     11
    .sgpr_spill_count: 0
    .symbol:         _Z6kernelI18striped_to_blockedN15benchmark_utils11custom_typeIddEELj256ELj8ELj100EEvPKT0_PKjPS4_.kd
    .uniform_work_group_size: 1
    .uses_dynamic_stack: false
    .vgpr_count:     42
    .vgpr_spill_count: 0
    .wavefront_size: 64
  - .agpr_count:     0
    .args:
      - .address_space:  global
        .offset:         0
        .size:           8
        .value_kind:     global_buffer
      - .address_space:  global
        .offset:         8
        .size:           8
        .value_kind:     global_buffer
      - .address_space:  global
        .offset:         16
        .size:           8
        .value_kind:     global_buffer
    .group_segment_fixed_size: 1024
    .kernarg_segment_align: 8
    .kernarg_segment_size: 24
    .language:       OpenCL C
    .language_version:
      - 2
      - 0
    .max_flat_workgroup_size: 256
    .name:           _Z6kernelI23blocked_to_warp_stripediLj256ELj1ELj100EEvPKT0_PKjPS1_
    .private_segment_fixed_size: 0
    .sgpr_count:     11
    .sgpr_spill_count: 0
    .symbol:         _Z6kernelI23blocked_to_warp_stripediLj256ELj1ELj100EEvPKT0_PKjPS1_.kd
    .uniform_work_group_size: 1
    .uses_dynamic_stack: false
    .vgpr_count:     4
    .vgpr_spill_count: 0
    .wavefront_size: 64
  - .agpr_count:     0
    .args:
      - .address_space:  global
        .offset:         0
        .size:           8
        .value_kind:     global_buffer
      - .address_space:  global
        .offset:         8
        .size:           8
        .value_kind:     global_buffer
      - .address_space:  global
        .offset:         16
        .size:           8
        .value_kind:     global_buffer
    .group_segment_fixed_size: 2112
    .kernarg_segment_align: 8
    .kernarg_segment_size: 24
    .language:       OpenCL C
    .language_version:
      - 2
      - 0
    .max_flat_workgroup_size: 256
    .name:           _Z6kernelI23blocked_to_warp_stripediLj256ELj2ELj100EEvPKT0_PKjPS1_
    .private_segment_fixed_size: 0
    .sgpr_count:     11
    .sgpr_spill_count: 0
    .symbol:         _Z6kernelI23blocked_to_warp_stripediLj256ELj2ELj100EEvPKT0_PKjPS1_.kd
    .uniform_work_group_size: 1
    .uses_dynamic_stack: false
    .vgpr_count:     8
    .vgpr_spill_count: 0
    .wavefront_size: 64
  - .agpr_count:     0
    .args:
      - .address_space:  global
        .offset:         0
        .size:           8
        .value_kind:     global_buffer
      - .address_space:  global
        .offset:         8
        .size:           8
        .value_kind:     global_buffer
      - .address_space:  global
        .offset:         16
        .size:           8
        .value_kind:     global_buffer
    .group_segment_fixed_size: 3072
    .kernarg_segment_align: 8
    .kernarg_segment_size: 24
    .language:       OpenCL C
    .language_version:
      - 2
      - 0
    .max_flat_workgroup_size: 256
    .name:           _Z6kernelI23blocked_to_warp_stripediLj256ELj3ELj100EEvPKT0_PKjPS1_
    .private_segment_fixed_size: 0
    .sgpr_count:     11
    .sgpr_spill_count: 0
    .symbol:         _Z6kernelI23blocked_to_warp_stripediLj256ELj3ELj100EEvPKT0_PKjPS1_.kd
    .uniform_work_group_size: 1
    .uses_dynamic_stack: false
    .vgpr_count:     7
    .vgpr_spill_count: 0
    .wavefront_size: 64
  - .agpr_count:     0
    .args:
      - .address_space:  global
        .offset:         0
        .size:           8
        .value_kind:     global_buffer
      - .address_space:  global
        .offset:         8
        .size:           8
        .value_kind:     global_buffer
      - .address_space:  global
        .offset:         16
        .size:           8
        .value_kind:     global_buffer
    .group_segment_fixed_size: 4224
    .kernarg_segment_align: 8
    .kernarg_segment_size: 24
    .language:       OpenCL C
    .language_version:
      - 2
      - 0
    .max_flat_workgroup_size: 256
    .name:           _Z6kernelI23blocked_to_warp_stripediLj256ELj4ELj100EEvPKT0_PKjPS1_
    .private_segment_fixed_size: 0
    .sgpr_count:     11
    .sgpr_spill_count: 0
    .symbol:         _Z6kernelI23blocked_to_warp_stripediLj256ELj4ELj100EEvPKT0_PKjPS1_.kd
    .uniform_work_group_size: 1
    .uses_dynamic_stack: false
    .vgpr_count:     12
    .vgpr_spill_count: 0
    .wavefront_size: 64
  - .agpr_count:     0
    .args:
      - .address_space:  global
        .offset:         0
        .size:           8
        .value_kind:     global_buffer
      - .address_space:  global
        .offset:         8
        .size:           8
        .value_kind:     global_buffer
      - .address_space:  global
        .offset:         16
        .size:           8
        .value_kind:     global_buffer
    .group_segment_fixed_size: 7168
    .kernarg_segment_align: 8
    .kernarg_segment_size: 24
    .language:       OpenCL C
    .language_version:
      - 2
      - 0
    .max_flat_workgroup_size: 256
    .name:           _Z6kernelI23blocked_to_warp_stripediLj256ELj7ELj100EEvPKT0_PKjPS1_
    .private_segment_fixed_size: 0
    .sgpr_count:     11
    .sgpr_spill_count: 0
    .symbol:         _Z6kernelI23blocked_to_warp_stripediLj256ELj7ELj100EEvPKT0_PKjPS1_.kd
    .uniform_work_group_size: 1
    .uses_dynamic_stack: false
    .vgpr_count:     11
    .vgpr_spill_count: 0
    .wavefront_size: 64
  - .agpr_count:     0
    .args:
      - .address_space:  global
        .offset:         0
        .size:           8
        .value_kind:     global_buffer
      - .address_space:  global
        .offset:         8
        .size:           8
        .value_kind:     global_buffer
      - .address_space:  global
        .offset:         16
        .size:           8
        .value_kind:     global_buffer
    .group_segment_fixed_size: 8448
    .kernarg_segment_align: 8
    .kernarg_segment_size: 24
    .language:       OpenCL C
    .language_version:
      - 2
      - 0
    .max_flat_workgroup_size: 256
    .name:           _Z6kernelI23blocked_to_warp_stripediLj256ELj8ELj100EEvPKT0_PKjPS1_
    .private_segment_fixed_size: 0
    .sgpr_count:     11
    .sgpr_spill_count: 0
    .symbol:         _Z6kernelI23blocked_to_warp_stripediLj256ELj8ELj100EEvPKT0_PKjPS1_.kd
    .uniform_work_group_size: 1
    .uses_dynamic_stack: false
    .vgpr_count:     20
    .vgpr_spill_count: 0
    .wavefront_size: 64
  - .agpr_count:     0
    .args:
      - .address_space:  global
        .offset:         0
        .size:           8
        .value_kind:     global_buffer
      - .address_space:  global
        .offset:         8
        .size:           8
        .value_kind:     global_buffer
      - .address_space:  global
        .offset:         16
        .size:           8
        .value_kind:     global_buffer
    .group_segment_fixed_size: 256
    .kernarg_segment_align: 8
    .kernarg_segment_size: 24
    .language:       OpenCL C
    .language_version:
      - 2
      - 0
    .max_flat_workgroup_size: 256
    .name:           _Z6kernelI23blocked_to_warp_stripedaLj256ELj1ELj100EEvPKT0_PKjPS1_
    .private_segment_fixed_size: 0
    .sgpr_count:     11
    .sgpr_spill_count: 0
    .symbol:         _Z6kernelI23blocked_to_warp_stripedaLj256ELj1ELj100EEvPKT0_PKjPS1_.kd
    .uniform_work_group_size: 1
    .uses_dynamic_stack: false
    .vgpr_count:     4
    .vgpr_spill_count: 0
    .wavefront_size: 64
  - .agpr_count:     0
    .args:
      - .address_space:  global
        .offset:         0
        .size:           8
        .value_kind:     global_buffer
      - .address_space:  global
        .offset:         8
        .size:           8
        .value_kind:     global_buffer
      - .address_space:  global
        .offset:         16
        .size:           8
        .value_kind:     global_buffer
    .group_segment_fixed_size: 528
    .kernarg_segment_align: 8
    .kernarg_segment_size: 24
    .language:       OpenCL C
    .language_version:
      - 2
      - 0
    .max_flat_workgroup_size: 256
    .name:           _Z6kernelI23blocked_to_warp_stripedaLj256ELj2ELj100EEvPKT0_PKjPS1_
    .private_segment_fixed_size: 0
    .sgpr_count:     11
    .sgpr_spill_count: 0
    .symbol:         _Z6kernelI23blocked_to_warp_stripedaLj256ELj2ELj100EEvPKT0_PKjPS1_.kd
    .uniform_work_group_size: 1
    .uses_dynamic_stack: false
    .vgpr_count:     8
    .vgpr_spill_count: 0
    .wavefront_size: 64
  - .agpr_count:     0
    .args:
      - .address_space:  global
        .offset:         0
        .size:           8
        .value_kind:     global_buffer
      - .address_space:  global
        .offset:         8
        .size:           8
        .value_kind:     global_buffer
      - .address_space:  global
        .offset:         16
        .size:           8
        .value_kind:     global_buffer
    .group_segment_fixed_size: 768
    .kernarg_segment_align: 8
    .kernarg_segment_size: 24
    .language:       OpenCL C
    .language_version:
      - 2
      - 0
    .max_flat_workgroup_size: 256
    .name:           _Z6kernelI23blocked_to_warp_stripedaLj256ELj3ELj100EEvPKT0_PKjPS1_
    .private_segment_fixed_size: 0
    .sgpr_count:     11
    .sgpr_spill_count: 0
    .symbol:         _Z6kernelI23blocked_to_warp_stripedaLj256ELj3ELj100EEvPKT0_PKjPS1_.kd
    .uniform_work_group_size: 1
    .uses_dynamic_stack: false
    .vgpr_count:     9
    .vgpr_spill_count: 0
    .wavefront_size: 64
  - .agpr_count:     0
    .args:
      - .address_space:  global
        .offset:         0
        .size:           8
        .value_kind:     global_buffer
      - .address_space:  global
        .offset:         8
        .size:           8
        .value_kind:     global_buffer
      - .address_space:  global
        .offset:         16
        .size:           8
        .value_kind:     global_buffer
    .group_segment_fixed_size: 1056
    .kernarg_segment_align: 8
    .kernarg_segment_size: 24
    .language:       OpenCL C
    .language_version:
      - 2
      - 0
    .max_flat_workgroup_size: 256
    .name:           _Z6kernelI23blocked_to_warp_stripedaLj256ELj4ELj100EEvPKT0_PKjPS1_
    .private_segment_fixed_size: 0
    .sgpr_count:     11
    .sgpr_spill_count: 0
    .symbol:         _Z6kernelI23blocked_to_warp_stripedaLj256ELj4ELj100EEvPKT0_PKjPS1_.kd
    .uniform_work_group_size: 1
    .uses_dynamic_stack: false
    .vgpr_count:     13
    .vgpr_spill_count: 0
    .wavefront_size: 64
  - .agpr_count:     0
    .args:
      - .address_space:  global
        .offset:         0
        .size:           8
        .value_kind:     global_buffer
      - .address_space:  global
        .offset:         8
        .size:           8
        .value_kind:     global_buffer
      - .address_space:  global
        .offset:         16
        .size:           8
        .value_kind:     global_buffer
    .group_segment_fixed_size: 1792
    .kernarg_segment_align: 8
    .kernarg_segment_size: 24
    .language:       OpenCL C
    .language_version:
      - 2
      - 0
    .max_flat_workgroup_size: 256
    .name:           _Z6kernelI23blocked_to_warp_stripedaLj256ELj7ELj100EEvPKT0_PKjPS1_
    .private_segment_fixed_size: 0
    .sgpr_count:     11
    .sgpr_spill_count: 0
    .symbol:         _Z6kernelI23blocked_to_warp_stripedaLj256ELj7ELj100EEvPKT0_PKjPS1_.kd
    .uniform_work_group_size: 1
    .uses_dynamic_stack: false
    .vgpr_count:     14
    .vgpr_spill_count: 0
    .wavefront_size: 64
  - .agpr_count:     0
    .args:
      - .address_space:  global
        .offset:         0
        .size:           8
        .value_kind:     global_buffer
      - .address_space:  global
        .offset:         8
        .size:           8
        .value_kind:     global_buffer
      - .address_space:  global
        .offset:         16
        .size:           8
        .value_kind:     global_buffer
    .group_segment_fixed_size: 2112
    .kernarg_segment_align: 8
    .kernarg_segment_size: 24
    .language:       OpenCL C
    .language_version:
      - 2
      - 0
    .max_flat_workgroup_size: 256
    .name:           _Z6kernelI23blocked_to_warp_stripedaLj256ELj8ELj100EEvPKT0_PKjPS1_
    .private_segment_fixed_size: 0
    .sgpr_count:     11
    .sgpr_spill_count: 0
    .symbol:         _Z6kernelI23blocked_to_warp_stripedaLj256ELj8ELj100EEvPKT0_PKjPS1_.kd
    .uniform_work_group_size: 1
    .uses_dynamic_stack: false
    .vgpr_count:     22
    .vgpr_spill_count: 0
    .wavefront_size: 64
  - .agpr_count:     0
    .args:
      - .address_space:  global
        .offset:         0
        .size:           8
        .value_kind:     global_buffer
      - .address_space:  global
        .offset:         8
        .size:           8
        .value_kind:     global_buffer
      - .address_space:  global
        .offset:         16
        .size:           8
        .value_kind:     global_buffer
    .group_segment_fixed_size: 2048
    .kernarg_segment_align: 8
    .kernarg_segment_size: 24
    .language:       OpenCL C
    .language_version:
      - 2
      - 0
    .max_flat_workgroup_size: 256
    .name:           _Z6kernelI23blocked_to_warp_stripedxLj256ELj1ELj100EEvPKT0_PKjPS1_
    .private_segment_fixed_size: 0
    .sgpr_count:     11
    .sgpr_spill_count: 0
    .symbol:         _Z6kernelI23blocked_to_warp_stripedxLj256ELj1ELj100EEvPKT0_PKjPS1_.kd
    .uniform_work_group_size: 1
    .uses_dynamic_stack: false
    .vgpr_count:     5
    .vgpr_spill_count: 0
    .wavefront_size: 64
  - .agpr_count:     0
    .args:
      - .address_space:  global
        .offset:         0
        .size:           8
        .value_kind:     global_buffer
      - .address_space:  global
        .offset:         8
        .size:           8
        .value_kind:     global_buffer
      - .address_space:  global
        .offset:         16
        .size:           8
        .value_kind:     global_buffer
    .group_segment_fixed_size: 4224
    .kernarg_segment_align: 8
    .kernarg_segment_size: 24
    .language:       OpenCL C
    .language_version:
      - 2
      - 0
    .max_flat_workgroup_size: 256
    .name:           _Z6kernelI23blocked_to_warp_stripedxLj256ELj2ELj100EEvPKT0_PKjPS1_
    .private_segment_fixed_size: 0
    .sgpr_count:     11
    .sgpr_spill_count: 0
    .symbol:         _Z6kernelI23blocked_to_warp_stripedxLj256ELj2ELj100EEvPKT0_PKjPS1_.kd
    .uniform_work_group_size: 1
    .uses_dynamic_stack: false
    .vgpr_count:     10
    .vgpr_spill_count: 0
    .wavefront_size: 64
  - .agpr_count:     0
    .args:
      - .address_space:  global
        .offset:         0
        .size:           8
        .value_kind:     global_buffer
      - .address_space:  global
        .offset:         8
        .size:           8
        .value_kind:     global_buffer
      - .address_space:  global
        .offset:         16
        .size:           8
        .value_kind:     global_buffer
    .group_segment_fixed_size: 6144
    .kernarg_segment_align: 8
    .kernarg_segment_size: 24
    .language:       OpenCL C
    .language_version:
      - 2
      - 0
    .max_flat_workgroup_size: 256
    .name:           _Z6kernelI23blocked_to_warp_stripedxLj256ELj3ELj100EEvPKT0_PKjPS1_
    .private_segment_fixed_size: 0
    .sgpr_count:     11
    .sgpr_spill_count: 0
    .symbol:         _Z6kernelI23blocked_to_warp_stripedxLj256ELj3ELj100EEvPKT0_PKjPS1_.kd
    .uniform_work_group_size: 1
    .uses_dynamic_stack: false
    .vgpr_count:     10
    .vgpr_spill_count: 0
    .wavefront_size: 64
  - .agpr_count:     0
    .args:
      - .address_space:  global
        .offset:         0
        .size:           8
        .value_kind:     global_buffer
      - .address_space:  global
        .offset:         8
        .size:           8
        .value_kind:     global_buffer
      - .address_space:  global
        .offset:         16
        .size:           8
        .value_kind:     global_buffer
    .group_segment_fixed_size: 8448
    .kernarg_segment_align: 8
    .kernarg_segment_size: 24
    .language:       OpenCL C
    .language_version:
      - 2
      - 0
    .max_flat_workgroup_size: 256
    .name:           _Z6kernelI23blocked_to_warp_stripedxLj256ELj4ELj100EEvPKT0_PKjPS1_
    .private_segment_fixed_size: 0
    .sgpr_count:     11
    .sgpr_spill_count: 0
    .symbol:         _Z6kernelI23blocked_to_warp_stripedxLj256ELj4ELj100EEvPKT0_PKjPS1_.kd
    .uniform_work_group_size: 1
    .uses_dynamic_stack: false
    .vgpr_count:     16
    .vgpr_spill_count: 0
    .wavefront_size: 64
  - .agpr_count:     0
    .args:
      - .address_space:  global
        .offset:         0
        .size:           8
        .value_kind:     global_buffer
      - .address_space:  global
        .offset:         8
        .size:           8
        .value_kind:     global_buffer
      - .address_space:  global
        .offset:         16
        .size:           8
        .value_kind:     global_buffer
    .group_segment_fixed_size: 14336
    .kernarg_segment_align: 8
    .kernarg_segment_size: 24
    .language:       OpenCL C
    .language_version:
      - 2
      - 0
    .max_flat_workgroup_size: 256
    .name:           _Z6kernelI23blocked_to_warp_stripedxLj256ELj7ELj100EEvPKT0_PKjPS1_
    .private_segment_fixed_size: 0
    .sgpr_count:     11
    .sgpr_spill_count: 0
    .symbol:         _Z6kernelI23blocked_to_warp_stripedxLj256ELj7ELj100EEvPKT0_PKjPS1_.kd
    .uniform_work_group_size: 1
    .uses_dynamic_stack: false
    .vgpr_count:     18
    .vgpr_spill_count: 0
    .wavefront_size: 64
  - .agpr_count:     0
    .args:
      - .address_space:  global
        .offset:         0
        .size:           8
        .value_kind:     global_buffer
      - .address_space:  global
        .offset:         8
        .size:           8
        .value_kind:     global_buffer
      - .address_space:  global
        .offset:         16
        .size:           8
        .value_kind:     global_buffer
    .group_segment_fixed_size: 16896
    .kernarg_segment_align: 8
    .kernarg_segment_size: 24
    .language:       OpenCL C
    .language_version:
      - 2
      - 0
    .max_flat_workgroup_size: 256
    .name:           _Z6kernelI23blocked_to_warp_stripedxLj256ELj8ELj100EEvPKT0_PKjPS1_
    .private_segment_fixed_size: 0
    .sgpr_count:     11
    .sgpr_spill_count: 0
    .symbol:         _Z6kernelI23blocked_to_warp_stripedxLj256ELj8ELj100EEvPKT0_PKjPS1_.kd
    .uniform_work_group_size: 1
    .uses_dynamic_stack: false
    .vgpr_count:     28
    .vgpr_spill_count: 0
    .wavefront_size: 64
  - .agpr_count:     0
    .args:
      - .address_space:  global
        .offset:         0
        .size:           8
        .value_kind:     global_buffer
      - .address_space:  global
        .offset:         8
        .size:           8
        .value_kind:     global_buffer
      - .address_space:  global
        .offset:         16
        .size:           8
        .value_kind:     global_buffer
    .group_segment_fixed_size: 2048
    .kernarg_segment_align: 8
    .kernarg_segment_size: 24
    .language:       OpenCL C
    .language_version:
      - 2
      - 0
    .max_flat_workgroup_size: 256
    .name:           _Z6kernelI23blocked_to_warp_stripedN15benchmark_utils11custom_typeIffEELj256ELj1ELj100EEvPKT0_PKjPS4_
    .private_segment_fixed_size: 0
    .sgpr_count:     11
    .sgpr_spill_count: 0
    .symbol:         _Z6kernelI23blocked_to_warp_stripedN15benchmark_utils11custom_typeIffEELj256ELj1ELj100EEvPKT0_PKjPS4_.kd
    .uniform_work_group_size: 1
    .uses_dynamic_stack: false
    .vgpr_count:     5
    .vgpr_spill_count: 0
    .wavefront_size: 64
  - .agpr_count:     0
    .args:
      - .address_space:  global
        .offset:         0
        .size:           8
        .value_kind:     global_buffer
      - .address_space:  global
        .offset:         8
        .size:           8
        .value_kind:     global_buffer
      - .address_space:  global
        .offset:         16
        .size:           8
        .value_kind:     global_buffer
    .group_segment_fixed_size: 4224
    .kernarg_segment_align: 8
    .kernarg_segment_size: 24
    .language:       OpenCL C
    .language_version:
      - 2
      - 0
    .max_flat_workgroup_size: 256
    .name:           _Z6kernelI23blocked_to_warp_stripedN15benchmark_utils11custom_typeIffEELj256ELj2ELj100EEvPKT0_PKjPS4_
    .private_segment_fixed_size: 0
    .sgpr_count:     11
    .sgpr_spill_count: 0
    .symbol:         _Z6kernelI23blocked_to_warp_stripedN15benchmark_utils11custom_typeIffEELj256ELj2ELj100EEvPKT0_PKjPS4_.kd
    .uniform_work_group_size: 1
    .uses_dynamic_stack: false
    .vgpr_count:     10
    .vgpr_spill_count: 0
    .wavefront_size: 64
  - .agpr_count:     0
    .args:
      - .address_space:  global
        .offset:         0
        .size:           8
        .value_kind:     global_buffer
      - .address_space:  global
        .offset:         8
        .size:           8
        .value_kind:     global_buffer
      - .address_space:  global
        .offset:         16
        .size:           8
        .value_kind:     global_buffer
    .group_segment_fixed_size: 6144
    .kernarg_segment_align: 8
    .kernarg_segment_size: 24
    .language:       OpenCL C
    .language_version:
      - 2
      - 0
    .max_flat_workgroup_size: 256
    .name:           _Z6kernelI23blocked_to_warp_stripedN15benchmark_utils11custom_typeIffEELj256ELj3ELj100EEvPKT0_PKjPS4_
    .private_segment_fixed_size: 0
    .sgpr_count:     11
    .sgpr_spill_count: 0
    .symbol:         _Z6kernelI23blocked_to_warp_stripedN15benchmark_utils11custom_typeIffEELj256ELj3ELj100EEvPKT0_PKjPS4_.kd
    .uniform_work_group_size: 1
    .uses_dynamic_stack: false
    .vgpr_count:     10
    .vgpr_spill_count: 0
    .wavefront_size: 64
  - .agpr_count:     0
    .args:
      - .address_space:  global
        .offset:         0
        .size:           8
        .value_kind:     global_buffer
      - .address_space:  global
        .offset:         8
        .size:           8
        .value_kind:     global_buffer
      - .address_space:  global
        .offset:         16
        .size:           8
        .value_kind:     global_buffer
    .group_segment_fixed_size: 8448
    .kernarg_segment_align: 8
    .kernarg_segment_size: 24
    .language:       OpenCL C
    .language_version:
      - 2
      - 0
    .max_flat_workgroup_size: 256
    .name:           _Z6kernelI23blocked_to_warp_stripedN15benchmark_utils11custom_typeIffEELj256ELj4ELj100EEvPKT0_PKjPS4_
    .private_segment_fixed_size: 0
    .sgpr_count:     11
    .sgpr_spill_count: 0
    .symbol:         _Z6kernelI23blocked_to_warp_stripedN15benchmark_utils11custom_typeIffEELj256ELj4ELj100EEvPKT0_PKjPS4_.kd
    .uniform_work_group_size: 1
    .uses_dynamic_stack: false
    .vgpr_count:     16
    .vgpr_spill_count: 0
    .wavefront_size: 64
  - .agpr_count:     0
    .args:
      - .address_space:  global
        .offset:         0
        .size:           8
        .value_kind:     global_buffer
      - .address_space:  global
        .offset:         8
        .size:           8
        .value_kind:     global_buffer
      - .address_space:  global
        .offset:         16
        .size:           8
        .value_kind:     global_buffer
    .group_segment_fixed_size: 14336
    .kernarg_segment_align: 8
    .kernarg_segment_size: 24
    .language:       OpenCL C
    .language_version:
      - 2
      - 0
    .max_flat_workgroup_size: 256
    .name:           _Z6kernelI23blocked_to_warp_stripedN15benchmark_utils11custom_typeIffEELj256ELj7ELj100EEvPKT0_PKjPS4_
    .private_segment_fixed_size: 0
    .sgpr_count:     11
    .sgpr_spill_count: 0
    .symbol:         _Z6kernelI23blocked_to_warp_stripedN15benchmark_utils11custom_typeIffEELj256ELj7ELj100EEvPKT0_PKjPS4_.kd
    .uniform_work_group_size: 1
    .uses_dynamic_stack: false
    .vgpr_count:     18
    .vgpr_spill_count: 0
    .wavefront_size: 64
  - .agpr_count:     0
    .args:
      - .address_space:  global
        .offset:         0
        .size:           8
        .value_kind:     global_buffer
      - .address_space:  global
        .offset:         8
        .size:           8
        .value_kind:     global_buffer
      - .address_space:  global
        .offset:         16
        .size:           8
        .value_kind:     global_buffer
    .group_segment_fixed_size: 16896
    .kernarg_segment_align: 8
    .kernarg_segment_size: 24
    .language:       OpenCL C
    .language_version:
      - 2
      - 0
    .max_flat_workgroup_size: 256
    .name:           _Z6kernelI23blocked_to_warp_stripedN15benchmark_utils11custom_typeIffEELj256ELj8ELj100EEvPKT0_PKjPS4_
    .private_segment_fixed_size: 0
    .sgpr_count:     11
    .sgpr_spill_count: 0
    .symbol:         _Z6kernelI23blocked_to_warp_stripedN15benchmark_utils11custom_typeIffEELj256ELj8ELj100EEvPKT0_PKjPS4_.kd
    .uniform_work_group_size: 1
    .uses_dynamic_stack: false
    .vgpr_count:     28
    .vgpr_spill_count: 0
    .wavefront_size: 64
  - .agpr_count:     0
    .args:
      - .address_space:  global
        .offset:         0
        .size:           8
        .value_kind:     global_buffer
      - .address_space:  global
        .offset:         8
        .size:           8
        .value_kind:     global_buffer
      - .address_space:  global
        .offset:         16
        .size:           8
        .value_kind:     global_buffer
    .group_segment_fixed_size: 4096
    .kernarg_segment_align: 8
    .kernarg_segment_size: 24
    .language:       OpenCL C
    .language_version:
      - 2
      - 0
    .max_flat_workgroup_size: 256
    .name:           _Z6kernelI23blocked_to_warp_stripedN15benchmark_utils11custom_typeIddEELj256ELj1ELj100EEvPKT0_PKjPS4_
    .private_segment_fixed_size: 0
    .sgpr_count:     11
    .sgpr_spill_count: 0
    .symbol:         _Z6kernelI23blocked_to_warp_stripedN15benchmark_utils11custom_typeIddEELj256ELj1ELj100EEvPKT0_PKjPS4_.kd
    .uniform_work_group_size: 1
    .uses_dynamic_stack: false
    .vgpr_count:     7
    .vgpr_spill_count: 0
    .wavefront_size: 64
  - .agpr_count:     0
    .args:
      - .address_space:  global
        .offset:         0
        .size:           8
        .value_kind:     global_buffer
      - .address_space:  global
        .offset:         8
        .size:           8
        .value_kind:     global_buffer
      - .address_space:  global
        .offset:         16
        .size:           8
        .value_kind:     global_buffer
    .group_segment_fixed_size: 8448
    .kernarg_segment_align: 8
    .kernarg_segment_size: 24
    .language:       OpenCL C
    .language_version:
      - 2
      - 0
    .max_flat_workgroup_size: 256
    .name:           _Z6kernelI23blocked_to_warp_stripedN15benchmark_utils11custom_typeIddEELj256ELj2ELj100EEvPKT0_PKjPS4_
    .private_segment_fixed_size: 0
    .sgpr_count:     11
    .sgpr_spill_count: 0
    .symbol:         _Z6kernelI23blocked_to_warp_stripedN15benchmark_utils11custom_typeIddEELj256ELj2ELj100EEvPKT0_PKjPS4_.kd
    .uniform_work_group_size: 1
    .uses_dynamic_stack: false
    .vgpr_count:     14
    .vgpr_spill_count: 0
    .wavefront_size: 64
  - .agpr_count:     0
    .args:
      - .address_space:  global
        .offset:         0
        .size:           8
        .value_kind:     global_buffer
      - .address_space:  global
        .offset:         8
        .size:           8
        .value_kind:     global_buffer
      - .address_space:  global
        .offset:         16
        .size:           8
        .value_kind:     global_buffer
    .group_segment_fixed_size: 12288
    .kernarg_segment_align: 8
    .kernarg_segment_size: 24
    .language:       OpenCL C
    .language_version:
      - 2
      - 0
    .max_flat_workgroup_size: 256
    .name:           _Z6kernelI23blocked_to_warp_stripedN15benchmark_utils11custom_typeIddEELj256ELj3ELj100EEvPKT0_PKjPS4_
    .private_segment_fixed_size: 0
    .sgpr_count:     11
    .sgpr_spill_count: 0
    .symbol:         _Z6kernelI23blocked_to_warp_stripedN15benchmark_utils11custom_typeIddEELj256ELj3ELj100EEvPKT0_PKjPS4_.kd
    .uniform_work_group_size: 1
    .uses_dynamic_stack: false
    .vgpr_count:     16
    .vgpr_spill_count: 0
    .wavefront_size: 64
  - .agpr_count:     0
    .args:
      - .address_space:  global
        .offset:         0
        .size:           8
        .value_kind:     global_buffer
      - .address_space:  global
        .offset:         8
        .size:           8
        .value_kind:     global_buffer
      - .address_space:  global
        .offset:         16
        .size:           8
        .value_kind:     global_buffer
    .group_segment_fixed_size: 16896
    .kernarg_segment_align: 8
    .kernarg_segment_size: 24
    .language:       OpenCL C
    .language_version:
      - 2
      - 0
    .max_flat_workgroup_size: 256
    .name:           _Z6kernelI23blocked_to_warp_stripedN15benchmark_utils11custom_typeIddEELj256ELj4ELj100EEvPKT0_PKjPS4_
    .private_segment_fixed_size: 0
    .sgpr_count:     11
    .sgpr_spill_count: 0
    .symbol:         _Z6kernelI23blocked_to_warp_stripedN15benchmark_utils11custom_typeIddEELj256ELj4ELj100EEvPKT0_PKjPS4_.kd
    .uniform_work_group_size: 1
    .uses_dynamic_stack: false
    .vgpr_count:     24
    .vgpr_spill_count: 0
    .wavefront_size: 64
  - .agpr_count:     0
    .args:
      - .address_space:  global
        .offset:         0
        .size:           8
        .value_kind:     global_buffer
      - .address_space:  global
        .offset:         8
        .size:           8
        .value_kind:     global_buffer
      - .address_space:  global
        .offset:         16
        .size:           8
        .value_kind:     global_buffer
    .group_segment_fixed_size: 28672
    .kernarg_segment_align: 8
    .kernarg_segment_size: 24
    .language:       OpenCL C
    .language_version:
      - 2
      - 0
    .max_flat_workgroup_size: 256
    .name:           _Z6kernelI23blocked_to_warp_stripedN15benchmark_utils11custom_typeIddEELj256ELj7ELj100EEvPKT0_PKjPS4_
    .private_segment_fixed_size: 0
    .sgpr_count:     11
    .sgpr_spill_count: 0
    .symbol:         _Z6kernelI23blocked_to_warp_stripedN15benchmark_utils11custom_typeIddEELj256ELj7ELj100EEvPKT0_PKjPS4_.kd
    .uniform_work_group_size: 1
    .uses_dynamic_stack: false
    .vgpr_count:     32
    .vgpr_spill_count: 0
    .wavefront_size: 64
  - .agpr_count:     0
    .args:
      - .address_space:  global
        .offset:         0
        .size:           8
        .value_kind:     global_buffer
      - .address_space:  global
        .offset:         8
        .size:           8
        .value_kind:     global_buffer
      - .address_space:  global
        .offset:         16
        .size:           8
        .value_kind:     global_buffer
    .group_segment_fixed_size: 33792
    .kernarg_segment_align: 8
    .kernarg_segment_size: 24
    .language:       OpenCL C
    .language_version:
      - 2
      - 0
    .max_flat_workgroup_size: 256
    .name:           _Z6kernelI23blocked_to_warp_stripedN15benchmark_utils11custom_typeIddEELj256ELj8ELj100EEvPKT0_PKjPS4_
    .private_segment_fixed_size: 0
    .sgpr_count:     11
    .sgpr_spill_count: 0
    .symbol:         _Z6kernelI23blocked_to_warp_stripedN15benchmark_utils11custom_typeIddEELj256ELj8ELj100EEvPKT0_PKjPS4_.kd
    .uniform_work_group_size: 1
    .uses_dynamic_stack: false
    .vgpr_count:     44
    .vgpr_spill_count: 0
    .wavefront_size: 64
  - .agpr_count:     0
    .args:
      - .address_space:  global
        .offset:         0
        .size:           8
        .value_kind:     global_buffer
      - .address_space:  global
        .offset:         8
        .size:           8
        .value_kind:     global_buffer
      - .address_space:  global
        .offset:         16
        .size:           8
        .value_kind:     global_buffer
    .group_segment_fixed_size: 1024
    .kernarg_segment_align: 8
    .kernarg_segment_size: 24
    .language:       OpenCL C
    .language_version:
      - 2
      - 0
    .max_flat_workgroup_size: 256
    .name:           _Z6kernelI23warp_striped_to_blockediLj256ELj1ELj100EEvPKT0_PKjPS1_
    .private_segment_fixed_size: 0
    .sgpr_count:     11
    .sgpr_spill_count: 0
    .symbol:         _Z6kernelI23warp_striped_to_blockediLj256ELj1ELj100EEvPKT0_PKjPS1_.kd
    .uniform_work_group_size: 1
    .uses_dynamic_stack: false
    .vgpr_count:     6
    .vgpr_spill_count: 0
    .wavefront_size: 64
  - .agpr_count:     0
    .args:
      - .address_space:  global
        .offset:         0
        .size:           8
        .value_kind:     global_buffer
      - .address_space:  global
        .offset:         8
        .size:           8
        .value_kind:     global_buffer
      - .address_space:  global
        .offset:         16
        .size:           8
        .value_kind:     global_buffer
    .group_segment_fixed_size: 2112
    .kernarg_segment_align: 8
    .kernarg_segment_size: 24
    .language:       OpenCL C
    .language_version:
      - 2
      - 0
    .max_flat_workgroup_size: 256
    .name:           _Z6kernelI23warp_striped_to_blockediLj256ELj2ELj100EEvPKT0_PKjPS1_
    .private_segment_fixed_size: 0
    .sgpr_count:     11
    .sgpr_spill_count: 0
    .symbol:         _Z6kernelI23warp_striped_to_blockediLj256ELj2ELj100EEvPKT0_PKjPS1_.kd
    .uniform_work_group_size: 1
    .uses_dynamic_stack: false
    .vgpr_count:     8
    .vgpr_spill_count: 0
    .wavefront_size: 64
  - .agpr_count:     0
    .args:
      - .address_space:  global
        .offset:         0
        .size:           8
        .value_kind:     global_buffer
      - .address_space:  global
        .offset:         8
        .size:           8
        .value_kind:     global_buffer
      - .address_space:  global
        .offset:         16
        .size:           8
        .value_kind:     global_buffer
    .group_segment_fixed_size: 3072
    .kernarg_segment_align: 8
    .kernarg_segment_size: 24
    .language:       OpenCL C
    .language_version:
      - 2
      - 0
    .max_flat_workgroup_size: 256
    .name:           _Z6kernelI23warp_striped_to_blockediLj256ELj3ELj100EEvPKT0_PKjPS1_
    .private_segment_fixed_size: 0
    .sgpr_count:     11
    .sgpr_spill_count: 0
    .symbol:         _Z6kernelI23warp_striped_to_blockediLj256ELj3ELj100EEvPKT0_PKjPS1_.kd
    .uniform_work_group_size: 1
    .uses_dynamic_stack: false
    .vgpr_count:     9
    .vgpr_spill_count: 0
    .wavefront_size: 64
  - .agpr_count:     0
    .args:
      - .address_space:  global
        .offset:         0
        .size:           8
        .value_kind:     global_buffer
      - .address_space:  global
        .offset:         8
        .size:           8
        .value_kind:     global_buffer
      - .address_space:  global
        .offset:         16
        .size:           8
        .value_kind:     global_buffer
    .group_segment_fixed_size: 4224
    .kernarg_segment_align: 8
    .kernarg_segment_size: 24
    .language:       OpenCL C
    .language_version:
      - 2
      - 0
    .max_flat_workgroup_size: 256
    .name:           _Z6kernelI23warp_striped_to_blockediLj256ELj4ELj100EEvPKT0_PKjPS1_
    .private_segment_fixed_size: 0
    .sgpr_count:     11
    .sgpr_spill_count: 0
    .symbol:         _Z6kernelI23warp_striped_to_blockediLj256ELj4ELj100EEvPKT0_PKjPS1_.kd
    .uniform_work_group_size: 1
    .uses_dynamic_stack: false
    .vgpr_count:     12
    .vgpr_spill_count: 0
    .wavefront_size: 64
  - .agpr_count:     0
    .args:
      - .address_space:  global
        .offset:         0
        .size:           8
        .value_kind:     global_buffer
      - .address_space:  global
        .offset:         8
        .size:           8
        .value_kind:     global_buffer
      - .address_space:  global
        .offset:         16
        .size:           8
        .value_kind:     global_buffer
    .group_segment_fixed_size: 7168
    .kernarg_segment_align: 8
    .kernarg_segment_size: 24
    .language:       OpenCL C
    .language_version:
      - 2
      - 0
    .max_flat_workgroup_size: 256
    .name:           _Z6kernelI23warp_striped_to_blockediLj256ELj7ELj100EEvPKT0_PKjPS1_
    .private_segment_fixed_size: 0
    .sgpr_count:     11
    .sgpr_spill_count: 0
    .symbol:         _Z6kernelI23warp_striped_to_blockediLj256ELj7ELj100EEvPKT0_PKjPS1_.kd
    .uniform_work_group_size: 1
    .uses_dynamic_stack: false
    .vgpr_count:     13
    .vgpr_spill_count: 0
    .wavefront_size: 64
  - .agpr_count:     0
    .args:
      - .address_space:  global
        .offset:         0
        .size:           8
        .value_kind:     global_buffer
      - .address_space:  global
        .offset:         8
        .size:           8
        .value_kind:     global_buffer
      - .address_space:  global
        .offset:         16
        .size:           8
        .value_kind:     global_buffer
    .group_segment_fixed_size: 8448
    .kernarg_segment_align: 8
    .kernarg_segment_size: 24
    .language:       OpenCL C
    .language_version:
      - 2
      - 0
    .max_flat_workgroup_size: 256
    .name:           _Z6kernelI23warp_striped_to_blockediLj256ELj8ELj100EEvPKT0_PKjPS1_
    .private_segment_fixed_size: 0
    .sgpr_count:     11
    .sgpr_spill_count: 0
    .symbol:         _Z6kernelI23warp_striped_to_blockediLj256ELj8ELj100EEvPKT0_PKjPS1_.kd
    .uniform_work_group_size: 1
    .uses_dynamic_stack: false
    .vgpr_count:     20
    .vgpr_spill_count: 0
    .wavefront_size: 64
  - .agpr_count:     0
    .args:
      - .address_space:  global
        .offset:         0
        .size:           8
        .value_kind:     global_buffer
      - .address_space:  global
        .offset:         8
        .size:           8
        .value_kind:     global_buffer
      - .address_space:  global
        .offset:         16
        .size:           8
        .value_kind:     global_buffer
    .group_segment_fixed_size: 256
    .kernarg_segment_align: 8
    .kernarg_segment_size: 24
    .language:       OpenCL C
    .language_version:
      - 2
      - 0
    .max_flat_workgroup_size: 256
    .name:           _Z6kernelI23warp_striped_to_blockedaLj256ELj1ELj100EEvPKT0_PKjPS1_
    .private_segment_fixed_size: 0
    .sgpr_count:     11
    .sgpr_spill_count: 0
    .symbol:         _Z6kernelI23warp_striped_to_blockedaLj256ELj1ELj100EEvPKT0_PKjPS1_.kd
    .uniform_work_group_size: 1
    .uses_dynamic_stack: false
    .vgpr_count:     6
    .vgpr_spill_count: 0
    .wavefront_size: 64
  - .agpr_count:     0
    .args:
      - .address_space:  global
        .offset:         0
        .size:           8
        .value_kind:     global_buffer
      - .address_space:  global
        .offset:         8
        .size:           8
        .value_kind:     global_buffer
      - .address_space:  global
        .offset:         16
        .size:           8
        .value_kind:     global_buffer
    .group_segment_fixed_size: 528
    .kernarg_segment_align: 8
    .kernarg_segment_size: 24
    .language:       OpenCL C
    .language_version:
      - 2
      - 0
    .max_flat_workgroup_size: 256
    .name:           _Z6kernelI23warp_striped_to_blockedaLj256ELj2ELj100EEvPKT0_PKjPS1_
    .private_segment_fixed_size: 0
    .sgpr_count:     11
    .sgpr_spill_count: 0
    .symbol:         _Z6kernelI23warp_striped_to_blockedaLj256ELj2ELj100EEvPKT0_PKjPS1_.kd
    .uniform_work_group_size: 1
    .uses_dynamic_stack: false
    .vgpr_count:     8
    .vgpr_spill_count: 0
    .wavefront_size: 64
  - .agpr_count:     0
    .args:
      - .address_space:  global
        .offset:         0
        .size:           8
        .value_kind:     global_buffer
      - .address_space:  global
        .offset:         8
        .size:           8
        .value_kind:     global_buffer
      - .address_space:  global
        .offset:         16
        .size:           8
        .value_kind:     global_buffer
    .group_segment_fixed_size: 768
    .kernarg_segment_align: 8
    .kernarg_segment_size: 24
    .language:       OpenCL C
    .language_version:
      - 2
      - 0
    .max_flat_workgroup_size: 256
    .name:           _Z6kernelI23warp_striped_to_blockedaLj256ELj3ELj100EEvPKT0_PKjPS1_
    .private_segment_fixed_size: 0
    .sgpr_count:     11
    .sgpr_spill_count: 0
    .symbol:         _Z6kernelI23warp_striped_to_blockedaLj256ELj3ELj100EEvPKT0_PKjPS1_.kd
    .uniform_work_group_size: 1
    .uses_dynamic_stack: false
    .vgpr_count:     8
    .vgpr_spill_count: 0
    .wavefront_size: 64
  - .agpr_count:     0
    .args:
      - .address_space:  global
        .offset:         0
        .size:           8
        .value_kind:     global_buffer
      - .address_space:  global
        .offset:         8
        .size:           8
        .value_kind:     global_buffer
      - .address_space:  global
        .offset:         16
        .size:           8
        .value_kind:     global_buffer
    .group_segment_fixed_size: 1056
    .kernarg_segment_align: 8
    .kernarg_segment_size: 24
    .language:       OpenCL C
    .language_version:
      - 2
      - 0
    .max_flat_workgroup_size: 256
    .name:           _Z6kernelI23warp_striped_to_blockedaLj256ELj4ELj100EEvPKT0_PKjPS1_
    .private_segment_fixed_size: 0
    .sgpr_count:     11
    .sgpr_spill_count: 0
    .symbol:         _Z6kernelI23warp_striped_to_blockedaLj256ELj4ELj100EEvPKT0_PKjPS1_.kd
    .uniform_work_group_size: 1
    .uses_dynamic_stack: false
    .vgpr_count:     12
    .vgpr_spill_count: 0
    .wavefront_size: 64
  - .agpr_count:     0
    .args:
      - .address_space:  global
        .offset:         0
        .size:           8
        .value_kind:     global_buffer
      - .address_space:  global
        .offset:         8
        .size:           8
        .value_kind:     global_buffer
      - .address_space:  global
        .offset:         16
        .size:           8
        .value_kind:     global_buffer
    .group_segment_fixed_size: 1792
    .kernarg_segment_align: 8
    .kernarg_segment_size: 24
    .language:       OpenCL C
    .language_version:
      - 2
      - 0
    .max_flat_workgroup_size: 256
    .name:           _Z6kernelI23warp_striped_to_blockedaLj256ELj7ELj100EEvPKT0_PKjPS1_
    .private_segment_fixed_size: 0
    .sgpr_count:     11
    .sgpr_spill_count: 0
    .symbol:         _Z6kernelI23warp_striped_to_blockedaLj256ELj7ELj100EEvPKT0_PKjPS1_.kd
    .uniform_work_group_size: 1
    .uses_dynamic_stack: false
    .vgpr_count:     12
    .vgpr_spill_count: 0
    .wavefront_size: 64
  - .agpr_count:     0
    .args:
      - .address_space:  global
        .offset:         0
        .size:           8
        .value_kind:     global_buffer
      - .address_space:  global
        .offset:         8
        .size:           8
        .value_kind:     global_buffer
      - .address_space:  global
        .offset:         16
        .size:           8
        .value_kind:     global_buffer
    .group_segment_fixed_size: 2112
    .kernarg_segment_align: 8
    .kernarg_segment_size: 24
    .language:       OpenCL C
    .language_version:
      - 2
      - 0
    .max_flat_workgroup_size: 256
    .name:           _Z6kernelI23warp_striped_to_blockedaLj256ELj8ELj100EEvPKT0_PKjPS1_
    .private_segment_fixed_size: 0
    .sgpr_count:     11
    .sgpr_spill_count: 0
    .symbol:         _Z6kernelI23warp_striped_to_blockedaLj256ELj8ELj100EEvPKT0_PKjPS1_.kd
    .uniform_work_group_size: 1
    .uses_dynamic_stack: false
    .vgpr_count:     23
    .vgpr_spill_count: 0
    .wavefront_size: 64
  - .agpr_count:     0
    .args:
      - .address_space:  global
        .offset:         0
        .size:           8
        .value_kind:     global_buffer
      - .address_space:  global
        .offset:         8
        .size:           8
        .value_kind:     global_buffer
      - .address_space:  global
        .offset:         16
        .size:           8
        .value_kind:     global_buffer
    .group_segment_fixed_size: 2048
    .kernarg_segment_align: 8
    .kernarg_segment_size: 24
    .language:       OpenCL C
    .language_version:
      - 2
      - 0
    .max_flat_workgroup_size: 256
    .name:           _Z6kernelI23warp_striped_to_blockedxLj256ELj1ELj100EEvPKT0_PKjPS1_
    .private_segment_fixed_size: 0
    .sgpr_count:     11
    .sgpr_spill_count: 0
    .symbol:         _Z6kernelI23warp_striped_to_blockedxLj256ELj1ELj100EEvPKT0_PKjPS1_.kd
    .uniform_work_group_size: 1
    .uses_dynamic_stack: false
    .vgpr_count:     6
    .vgpr_spill_count: 0
    .wavefront_size: 64
  - .agpr_count:     0
    .args:
      - .address_space:  global
        .offset:         0
        .size:           8
        .value_kind:     global_buffer
      - .address_space:  global
        .offset:         8
        .size:           8
        .value_kind:     global_buffer
      - .address_space:  global
        .offset:         16
        .size:           8
        .value_kind:     global_buffer
    .group_segment_fixed_size: 4224
    .kernarg_segment_align: 8
    .kernarg_segment_size: 24
    .language:       OpenCL C
    .language_version:
      - 2
      - 0
    .max_flat_workgroup_size: 256
    .name:           _Z6kernelI23warp_striped_to_blockedxLj256ELj2ELj100EEvPKT0_PKjPS1_
    .private_segment_fixed_size: 0
    .sgpr_count:     11
    .sgpr_spill_count: 0
    .symbol:         _Z6kernelI23warp_striped_to_blockedxLj256ELj2ELj100EEvPKT0_PKjPS1_.kd
    .uniform_work_group_size: 1
    .uses_dynamic_stack: false
    .vgpr_count:     10
    .vgpr_spill_count: 0
    .wavefront_size: 64
  - .agpr_count:     0
    .args:
      - .address_space:  global
        .offset:         0
        .size:           8
        .value_kind:     global_buffer
      - .address_space:  global
        .offset:         8
        .size:           8
        .value_kind:     global_buffer
      - .address_space:  global
        .offset:         16
        .size:           8
        .value_kind:     global_buffer
    .group_segment_fixed_size: 6144
    .kernarg_segment_align: 8
    .kernarg_segment_size: 24
    .language:       OpenCL C
    .language_version:
      - 2
      - 0
    .max_flat_workgroup_size: 256
    .name:           _Z6kernelI23warp_striped_to_blockedxLj256ELj3ELj100EEvPKT0_PKjPS1_
    .private_segment_fixed_size: 0
    .sgpr_count:     11
    .sgpr_spill_count: 0
    .symbol:         _Z6kernelI23warp_striped_to_blockedxLj256ELj3ELj100EEvPKT0_PKjPS1_.kd
    .uniform_work_group_size: 1
    .uses_dynamic_stack: false
    .vgpr_count:     12
    .vgpr_spill_count: 0
    .wavefront_size: 64
  - .agpr_count:     0
    .args:
      - .address_space:  global
        .offset:         0
        .size:           8
        .value_kind:     global_buffer
      - .address_space:  global
        .offset:         8
        .size:           8
        .value_kind:     global_buffer
      - .address_space:  global
        .offset:         16
        .size:           8
        .value_kind:     global_buffer
    .group_segment_fixed_size: 8448
    .kernarg_segment_align: 8
    .kernarg_segment_size: 24
    .language:       OpenCL C
    .language_version:
      - 2
      - 0
    .max_flat_workgroup_size: 256
    .name:           _Z6kernelI23warp_striped_to_blockedxLj256ELj4ELj100EEvPKT0_PKjPS1_
    .private_segment_fixed_size: 0
    .sgpr_count:     11
    .sgpr_spill_count: 0
    .symbol:         _Z6kernelI23warp_striped_to_blockedxLj256ELj4ELj100EEvPKT0_PKjPS1_.kd
    .uniform_work_group_size: 1
    .uses_dynamic_stack: false
    .vgpr_count:     16
    .vgpr_spill_count: 0
    .wavefront_size: 64
  - .agpr_count:     0
    .args:
      - .address_space:  global
        .offset:         0
        .size:           8
        .value_kind:     global_buffer
      - .address_space:  global
        .offset:         8
        .size:           8
        .value_kind:     global_buffer
      - .address_space:  global
        .offset:         16
        .size:           8
        .value_kind:     global_buffer
    .group_segment_fixed_size: 14336
    .kernarg_segment_align: 8
    .kernarg_segment_size: 24
    .language:       OpenCL C
    .language_version:
      - 2
      - 0
    .max_flat_workgroup_size: 256
    .name:           _Z6kernelI23warp_striped_to_blockedxLj256ELj7ELj100EEvPKT0_PKjPS1_
    .private_segment_fixed_size: 0
    .sgpr_count:     11
    .sgpr_spill_count: 0
    .symbol:         _Z6kernelI23warp_striped_to_blockedxLj256ELj7ELj100EEvPKT0_PKjPS1_.kd
    .uniform_work_group_size: 1
    .uses_dynamic_stack: false
    .vgpr_count:     20
    .vgpr_spill_count: 0
    .wavefront_size: 64
  - .agpr_count:     0
    .args:
      - .address_space:  global
        .offset:         0
        .size:           8
        .value_kind:     global_buffer
      - .address_space:  global
        .offset:         8
        .size:           8
        .value_kind:     global_buffer
      - .address_space:  global
        .offset:         16
        .size:           8
        .value_kind:     global_buffer
    .group_segment_fixed_size: 16896
    .kernarg_segment_align: 8
    .kernarg_segment_size: 24
    .language:       OpenCL C
    .language_version:
      - 2
      - 0
    .max_flat_workgroup_size: 256
    .name:           _Z6kernelI23warp_striped_to_blockedxLj256ELj8ELj100EEvPKT0_PKjPS1_
    .private_segment_fixed_size: 0
    .sgpr_count:     11
    .sgpr_spill_count: 0
    .symbol:         _Z6kernelI23warp_striped_to_blockedxLj256ELj8ELj100EEvPKT0_PKjPS1_.kd
    .uniform_work_group_size: 1
    .uses_dynamic_stack: false
    .vgpr_count:     28
    .vgpr_spill_count: 0
    .wavefront_size: 64
  - .agpr_count:     0
    .args:
      - .address_space:  global
        .offset:         0
        .size:           8
        .value_kind:     global_buffer
      - .address_space:  global
        .offset:         8
        .size:           8
        .value_kind:     global_buffer
      - .address_space:  global
        .offset:         16
        .size:           8
        .value_kind:     global_buffer
    .group_segment_fixed_size: 2048
    .kernarg_segment_align: 8
    .kernarg_segment_size: 24
    .language:       OpenCL C
    .language_version:
      - 2
      - 0
    .max_flat_workgroup_size: 256
    .name:           _Z6kernelI23warp_striped_to_blockedN15benchmark_utils11custom_typeIffEELj256ELj1ELj100EEvPKT0_PKjPS4_
    .private_segment_fixed_size: 0
    .sgpr_count:     11
    .sgpr_spill_count: 0
    .symbol:         _Z6kernelI23warp_striped_to_blockedN15benchmark_utils11custom_typeIffEELj256ELj1ELj100EEvPKT0_PKjPS4_.kd
    .uniform_work_group_size: 1
    .uses_dynamic_stack: false
    .vgpr_count:     6
    .vgpr_spill_count: 0
    .wavefront_size: 64
  - .agpr_count:     0
    .args:
      - .address_space:  global
        .offset:         0
        .size:           8
        .value_kind:     global_buffer
      - .address_space:  global
        .offset:         8
        .size:           8
        .value_kind:     global_buffer
      - .address_space:  global
        .offset:         16
        .size:           8
        .value_kind:     global_buffer
    .group_segment_fixed_size: 4224
    .kernarg_segment_align: 8
    .kernarg_segment_size: 24
    .language:       OpenCL C
    .language_version:
      - 2
      - 0
    .max_flat_workgroup_size: 256
    .name:           _Z6kernelI23warp_striped_to_blockedN15benchmark_utils11custom_typeIffEELj256ELj2ELj100EEvPKT0_PKjPS4_
    .private_segment_fixed_size: 0
    .sgpr_count:     11
    .sgpr_spill_count: 0
    .symbol:         _Z6kernelI23warp_striped_to_blockedN15benchmark_utils11custom_typeIffEELj256ELj2ELj100EEvPKT0_PKjPS4_.kd
    .uniform_work_group_size: 1
    .uses_dynamic_stack: false
    .vgpr_count:     10
    .vgpr_spill_count: 0
    .wavefront_size: 64
  - .agpr_count:     0
    .args:
      - .address_space:  global
        .offset:         0
        .size:           8
        .value_kind:     global_buffer
      - .address_space:  global
        .offset:         8
        .size:           8
        .value_kind:     global_buffer
      - .address_space:  global
        .offset:         16
        .size:           8
        .value_kind:     global_buffer
    .group_segment_fixed_size: 6144
    .kernarg_segment_align: 8
    .kernarg_segment_size: 24
    .language:       OpenCL C
    .language_version:
      - 2
      - 0
    .max_flat_workgroup_size: 256
    .name:           _Z6kernelI23warp_striped_to_blockedN15benchmark_utils11custom_typeIffEELj256ELj3ELj100EEvPKT0_PKjPS4_
    .private_segment_fixed_size: 0
    .sgpr_count:     11
    .sgpr_spill_count: 0
    .symbol:         _Z6kernelI23warp_striped_to_blockedN15benchmark_utils11custom_typeIffEELj256ELj3ELj100EEvPKT0_PKjPS4_.kd
    .uniform_work_group_size: 1
    .uses_dynamic_stack: false
    .vgpr_count:     12
    .vgpr_spill_count: 0
    .wavefront_size: 64
  - .agpr_count:     0
    .args:
      - .address_space:  global
        .offset:         0
        .size:           8
        .value_kind:     global_buffer
      - .address_space:  global
        .offset:         8
        .size:           8
        .value_kind:     global_buffer
      - .address_space:  global
        .offset:         16
        .size:           8
        .value_kind:     global_buffer
    .group_segment_fixed_size: 8448
    .kernarg_segment_align: 8
    .kernarg_segment_size: 24
    .language:       OpenCL C
    .language_version:
      - 2
      - 0
    .max_flat_workgroup_size: 256
    .name:           _Z6kernelI23warp_striped_to_blockedN15benchmark_utils11custom_typeIffEELj256ELj4ELj100EEvPKT0_PKjPS4_
    .private_segment_fixed_size: 0
    .sgpr_count:     11
    .sgpr_spill_count: 0
    .symbol:         _Z6kernelI23warp_striped_to_blockedN15benchmark_utils11custom_typeIffEELj256ELj4ELj100EEvPKT0_PKjPS4_.kd
    .uniform_work_group_size: 1
    .uses_dynamic_stack: false
    .vgpr_count:     16
    .vgpr_spill_count: 0
    .wavefront_size: 64
  - .agpr_count:     0
    .args:
      - .address_space:  global
        .offset:         0
        .size:           8
        .value_kind:     global_buffer
      - .address_space:  global
        .offset:         8
        .size:           8
        .value_kind:     global_buffer
      - .address_space:  global
        .offset:         16
        .size:           8
        .value_kind:     global_buffer
    .group_segment_fixed_size: 14336
    .kernarg_segment_align: 8
    .kernarg_segment_size: 24
    .language:       OpenCL C
    .language_version:
      - 2
      - 0
    .max_flat_workgroup_size: 256
    .name:           _Z6kernelI23warp_striped_to_blockedN15benchmark_utils11custom_typeIffEELj256ELj7ELj100EEvPKT0_PKjPS4_
    .private_segment_fixed_size: 0
    .sgpr_count:     11
    .sgpr_spill_count: 0
    .symbol:         _Z6kernelI23warp_striped_to_blockedN15benchmark_utils11custom_typeIffEELj256ELj7ELj100EEvPKT0_PKjPS4_.kd
    .uniform_work_group_size: 1
    .uses_dynamic_stack: false
    .vgpr_count:     20
    .vgpr_spill_count: 0
    .wavefront_size: 64
  - .agpr_count:     0
    .args:
      - .address_space:  global
        .offset:         0
        .size:           8
        .value_kind:     global_buffer
      - .address_space:  global
        .offset:         8
        .size:           8
        .value_kind:     global_buffer
      - .address_space:  global
        .offset:         16
        .size:           8
        .value_kind:     global_buffer
    .group_segment_fixed_size: 16896
    .kernarg_segment_align: 8
    .kernarg_segment_size: 24
    .language:       OpenCL C
    .language_version:
      - 2
      - 0
    .max_flat_workgroup_size: 256
    .name:           _Z6kernelI23warp_striped_to_blockedN15benchmark_utils11custom_typeIffEELj256ELj8ELj100EEvPKT0_PKjPS4_
    .private_segment_fixed_size: 0
    .sgpr_count:     11
    .sgpr_spill_count: 0
    .symbol:         _Z6kernelI23warp_striped_to_blockedN15benchmark_utils11custom_typeIffEELj256ELj8ELj100EEvPKT0_PKjPS4_.kd
    .uniform_work_group_size: 1
    .uses_dynamic_stack: false
    .vgpr_count:     28
    .vgpr_spill_count: 0
    .wavefront_size: 64
  - .agpr_count:     0
    .args:
      - .address_space:  global
        .offset:         0
        .size:           8
        .value_kind:     global_buffer
      - .address_space:  global
        .offset:         8
        .size:           8
        .value_kind:     global_buffer
      - .address_space:  global
        .offset:         16
        .size:           8
        .value_kind:     global_buffer
    .group_segment_fixed_size: 4096
    .kernarg_segment_align: 8
    .kernarg_segment_size: 24
    .language:       OpenCL C
    .language_version:
      - 2
      - 0
    .max_flat_workgroup_size: 256
    .name:           _Z6kernelI23warp_striped_to_blockedN15benchmark_utils11custom_typeIddEELj256ELj1ELj100EEvPKT0_PKjPS4_
    .private_segment_fixed_size: 0
    .sgpr_count:     11
    .sgpr_spill_count: 0
    .symbol:         _Z6kernelI23warp_striped_to_blockedN15benchmark_utils11custom_typeIddEELj256ELj1ELj100EEvPKT0_PKjPS4_.kd
    .uniform_work_group_size: 1
    .uses_dynamic_stack: false
    .vgpr_count:     7
    .vgpr_spill_count: 0
    .wavefront_size: 64
  - .agpr_count:     0
    .args:
      - .address_space:  global
        .offset:         0
        .size:           8
        .value_kind:     global_buffer
      - .address_space:  global
        .offset:         8
        .size:           8
        .value_kind:     global_buffer
      - .address_space:  global
        .offset:         16
        .size:           8
        .value_kind:     global_buffer
    .group_segment_fixed_size: 8448
    .kernarg_segment_align: 8
    .kernarg_segment_size: 24
    .language:       OpenCL C
    .language_version:
      - 2
      - 0
    .max_flat_workgroup_size: 256
    .name:           _Z6kernelI23warp_striped_to_blockedN15benchmark_utils11custom_typeIddEELj256ELj2ELj100EEvPKT0_PKjPS4_
    .private_segment_fixed_size: 0
    .sgpr_count:     11
    .sgpr_spill_count: 0
    .symbol:         _Z6kernelI23warp_striped_to_blockedN15benchmark_utils11custom_typeIddEELj256ELj2ELj100EEvPKT0_PKjPS4_.kd
    .uniform_work_group_size: 1
    .uses_dynamic_stack: false
    .vgpr_count:     14
    .vgpr_spill_count: 0
    .wavefront_size: 64
  - .agpr_count:     0
    .args:
      - .address_space:  global
        .offset:         0
        .size:           8
        .value_kind:     global_buffer
      - .address_space:  global
        .offset:         8
        .size:           8
        .value_kind:     global_buffer
      - .address_space:  global
        .offset:         16
        .size:           8
        .value_kind:     global_buffer
    .group_segment_fixed_size: 12288
    .kernarg_segment_align: 8
    .kernarg_segment_size: 24
    .language:       OpenCL C
    .language_version:
      - 2
      - 0
    .max_flat_workgroup_size: 256
    .name:           _Z6kernelI23warp_striped_to_blockedN15benchmark_utils11custom_typeIddEELj256ELj3ELj100EEvPKT0_PKjPS4_
    .private_segment_fixed_size: 0
    .sgpr_count:     11
    .sgpr_spill_count: 0
    .symbol:         _Z6kernelI23warp_striped_to_blockedN15benchmark_utils11custom_typeIddEELj256ELj3ELj100EEvPKT0_PKjPS4_.kd
    .uniform_work_group_size: 1
    .uses_dynamic_stack: false
    .vgpr_count:     18
    .vgpr_spill_count: 0
    .wavefront_size: 64
  - .agpr_count:     0
    .args:
      - .address_space:  global
        .offset:         0
        .size:           8
        .value_kind:     global_buffer
      - .address_space:  global
        .offset:         8
        .size:           8
        .value_kind:     global_buffer
      - .address_space:  global
        .offset:         16
        .size:           8
        .value_kind:     global_buffer
    .group_segment_fixed_size: 16896
    .kernarg_segment_align: 8
    .kernarg_segment_size: 24
    .language:       OpenCL C
    .language_version:
      - 2
      - 0
    .max_flat_workgroup_size: 256
    .name:           _Z6kernelI23warp_striped_to_blockedN15benchmark_utils11custom_typeIddEELj256ELj4ELj100EEvPKT0_PKjPS4_
    .private_segment_fixed_size: 0
    .sgpr_count:     11
    .sgpr_spill_count: 0
    .symbol:         _Z6kernelI23warp_striped_to_blockedN15benchmark_utils11custom_typeIddEELj256ELj4ELj100EEvPKT0_PKjPS4_.kd
    .uniform_work_group_size: 1
    .uses_dynamic_stack: false
    .vgpr_count:     24
    .vgpr_spill_count: 0
    .wavefront_size: 64
  - .agpr_count:     0
    .args:
      - .address_space:  global
        .offset:         0
        .size:           8
        .value_kind:     global_buffer
      - .address_space:  global
        .offset:         8
        .size:           8
        .value_kind:     global_buffer
      - .address_space:  global
        .offset:         16
        .size:           8
        .value_kind:     global_buffer
    .group_segment_fixed_size: 28672
    .kernarg_segment_align: 8
    .kernarg_segment_size: 24
    .language:       OpenCL C
    .language_version:
      - 2
      - 0
    .max_flat_workgroup_size: 256
    .name:           _Z6kernelI23warp_striped_to_blockedN15benchmark_utils11custom_typeIddEELj256ELj7ELj100EEvPKT0_PKjPS4_
    .private_segment_fixed_size: 0
    .sgpr_count:     11
    .sgpr_spill_count: 0
    .symbol:         _Z6kernelI23warp_striped_to_blockedN15benchmark_utils11custom_typeIddEELj256ELj7ELj100EEvPKT0_PKjPS4_.kd
    .uniform_work_group_size: 1
    .uses_dynamic_stack: false
    .vgpr_count:     34
    .vgpr_spill_count: 0
    .wavefront_size: 64
  - .agpr_count:     0
    .args:
      - .address_space:  global
        .offset:         0
        .size:           8
        .value_kind:     global_buffer
      - .address_space:  global
        .offset:         8
        .size:           8
        .value_kind:     global_buffer
      - .address_space:  global
        .offset:         16
        .size:           8
        .value_kind:     global_buffer
    .group_segment_fixed_size: 33792
    .kernarg_segment_align: 8
    .kernarg_segment_size: 24
    .language:       OpenCL C
    .language_version:
      - 2
      - 0
    .max_flat_workgroup_size: 256
    .name:           _Z6kernelI23warp_striped_to_blockedN15benchmark_utils11custom_typeIddEELj256ELj8ELj100EEvPKT0_PKjPS4_
    .private_segment_fixed_size: 0
    .sgpr_count:     11
    .sgpr_spill_count: 0
    .symbol:         _Z6kernelI23warp_striped_to_blockedN15benchmark_utils11custom_typeIddEELj256ELj8ELj100EEvPKT0_PKjPS4_.kd
    .uniform_work_group_size: 1
    .uses_dynamic_stack: false
    .vgpr_count:     44
    .vgpr_spill_count: 0
    .wavefront_size: 64
  - .agpr_count:     0
    .args:
      - .address_space:  global
        .offset:         0
        .size:           8
        .value_kind:     global_buffer
      - .address_space:  global
        .offset:         8
        .size:           8
        .value_kind:     global_buffer
      - .address_space:  global
        .offset:         16
        .size:           8
        .value_kind:     global_buffer
    .group_segment_fixed_size: 1024
    .kernarg_segment_align: 8
    .kernarg_segment_size: 24
    .language:       OpenCL C
    .language_version:
      - 2
      - 0
    .max_flat_workgroup_size: 256
    .name:           _Z6kernelI18scatter_to_blockediLj256ELj1ELj100EEvPKT0_PKjPS1_
    .private_segment_fixed_size: 0
    .sgpr_count:     16
    .sgpr_spill_count: 0
    .symbol:         _Z6kernelI18scatter_to_blockediLj256ELj1ELj100EEvPKT0_PKjPS1_.kd
    .uniform_work_group_size: 1
    .uses_dynamic_stack: false
    .vgpr_count:     4
    .vgpr_spill_count: 0
    .wavefront_size: 64
  - .agpr_count:     0
    .args:
      - .address_space:  global
        .offset:         0
        .size:           8
        .value_kind:     global_buffer
      - .address_space:  global
        .offset:         8
        .size:           8
        .value_kind:     global_buffer
      - .address_space:  global
        .offset:         16
        .size:           8
        .value_kind:     global_buffer
    .group_segment_fixed_size: 2112
    .kernarg_segment_align: 8
    .kernarg_segment_size: 24
    .language:       OpenCL C
    .language_version:
      - 2
      - 0
    .max_flat_workgroup_size: 256
    .name:           _Z6kernelI18scatter_to_blockediLj256ELj2ELj100EEvPKT0_PKjPS1_
    .private_segment_fixed_size: 0
    .sgpr_count:     16
    .sgpr_spill_count: 0
    .symbol:         _Z6kernelI18scatter_to_blockediLj256ELj2ELj100EEvPKT0_PKjPS1_.kd
    .uniform_work_group_size: 1
    .uses_dynamic_stack: false
    .vgpr_count:     8
    .vgpr_spill_count: 0
    .wavefront_size: 64
  - .agpr_count:     0
    .args:
      - .address_space:  global
        .offset:         0
        .size:           8
        .value_kind:     global_buffer
      - .address_space:  global
        .offset:         8
        .size:           8
        .value_kind:     global_buffer
      - .address_space:  global
        .offset:         16
        .size:           8
        .value_kind:     global_buffer
    .group_segment_fixed_size: 3072
    .kernarg_segment_align: 8
    .kernarg_segment_size: 24
    .language:       OpenCL C
    .language_version:
      - 2
      - 0
    .max_flat_workgroup_size: 256
    .name:           _Z6kernelI18scatter_to_blockediLj256ELj3ELj100EEvPKT0_PKjPS1_
    .private_segment_fixed_size: 0
    .sgpr_count:     16
    .sgpr_spill_count: 0
    .symbol:         _Z6kernelI18scatter_to_blockediLj256ELj3ELj100EEvPKT0_PKjPS1_.kd
    .uniform_work_group_size: 1
    .uses_dynamic_stack: false
    .vgpr_count:     8
    .vgpr_spill_count: 0
    .wavefront_size: 64
  - .agpr_count:     0
    .args:
      - .address_space:  global
        .offset:         0
        .size:           8
        .value_kind:     global_buffer
      - .address_space:  global
        .offset:         8
        .size:           8
        .value_kind:     global_buffer
      - .address_space:  global
        .offset:         16
        .size:           8
        .value_kind:     global_buffer
    .group_segment_fixed_size: 4224
    .kernarg_segment_align: 8
    .kernarg_segment_size: 24
    .language:       OpenCL C
    .language_version:
      - 2
      - 0
    .max_flat_workgroup_size: 256
    .name:           _Z6kernelI18scatter_to_blockediLj256ELj4ELj100EEvPKT0_PKjPS1_
    .private_segment_fixed_size: 0
    .sgpr_count:     16
    .sgpr_spill_count: 0
    .symbol:         _Z6kernelI18scatter_to_blockediLj256ELj4ELj100EEvPKT0_PKjPS1_.kd
    .uniform_work_group_size: 1
    .uses_dynamic_stack: false
    .vgpr_count:     14
    .vgpr_spill_count: 0
    .wavefront_size: 64
  - .agpr_count:     0
    .args:
      - .address_space:  global
        .offset:         0
        .size:           8
        .value_kind:     global_buffer
      - .address_space:  global
        .offset:         8
        .size:           8
        .value_kind:     global_buffer
      - .address_space:  global
        .offset:         16
        .size:           8
        .value_kind:     global_buffer
    .group_segment_fixed_size: 7168
    .kernarg_segment_align: 8
    .kernarg_segment_size: 24
    .language:       OpenCL C
    .language_version:
      - 2
      - 0
    .max_flat_workgroup_size: 256
    .name:           _Z6kernelI18scatter_to_blockediLj256ELj7ELj100EEvPKT0_PKjPS1_
    .private_segment_fixed_size: 0
    .sgpr_count:     16
    .sgpr_spill_count: 0
    .symbol:         _Z6kernelI18scatter_to_blockediLj256ELj7ELj100EEvPKT0_PKjPS1_.kd
    .uniform_work_group_size: 1
    .uses_dynamic_stack: false
    .vgpr_count:     20
    .vgpr_spill_count: 0
    .wavefront_size: 64
  - .agpr_count:     0
    .args:
      - .address_space:  global
        .offset:         0
        .size:           8
        .value_kind:     global_buffer
      - .address_space:  global
        .offset:         8
        .size:           8
        .value_kind:     global_buffer
      - .address_space:  global
        .offset:         16
        .size:           8
        .value_kind:     global_buffer
    .group_segment_fixed_size: 8448
    .kernarg_segment_align: 8
    .kernarg_segment_size: 24
    .language:       OpenCL C
    .language_version:
      - 2
      - 0
    .max_flat_workgroup_size: 256
    .name:           _Z6kernelI18scatter_to_blockediLj256ELj8ELj100EEvPKT0_PKjPS1_
    .private_segment_fixed_size: 0
    .sgpr_count:     16
    .sgpr_spill_count: 0
    .symbol:         _Z6kernelI18scatter_to_blockediLj256ELj8ELj100EEvPKT0_PKjPS1_.kd
    .uniform_work_group_size: 1
    .uses_dynamic_stack: false
    .vgpr_count:     22
    .vgpr_spill_count: 0
    .wavefront_size: 64
  - .agpr_count:     0
    .args:
      - .address_space:  global
        .offset:         0
        .size:           8
        .value_kind:     global_buffer
      - .address_space:  global
        .offset:         8
        .size:           8
        .value_kind:     global_buffer
      - .address_space:  global
        .offset:         16
        .size:           8
        .value_kind:     global_buffer
    .group_segment_fixed_size: 256
    .kernarg_segment_align: 8
    .kernarg_segment_size: 24
    .language:       OpenCL C
    .language_version:
      - 2
      - 0
    .max_flat_workgroup_size: 256
    .name:           _Z6kernelI18scatter_to_blockedaLj256ELj1ELj100EEvPKT0_PKjPS1_
    .private_segment_fixed_size: 0
    .sgpr_count:     16
    .sgpr_spill_count: 0
    .symbol:         _Z6kernelI18scatter_to_blockedaLj256ELj1ELj100EEvPKT0_PKjPS1_.kd
    .uniform_work_group_size: 1
    .uses_dynamic_stack: false
    .vgpr_count:     4
    .vgpr_spill_count: 0
    .wavefront_size: 64
  - .agpr_count:     0
    .args:
      - .address_space:  global
        .offset:         0
        .size:           8
        .value_kind:     global_buffer
      - .address_space:  global
        .offset:         8
        .size:           8
        .value_kind:     global_buffer
      - .address_space:  global
        .offset:         16
        .size:           8
        .value_kind:     global_buffer
    .group_segment_fixed_size: 528
    .kernarg_segment_align: 8
    .kernarg_segment_size: 24
    .language:       OpenCL C
    .language_version:
      - 2
      - 0
    .max_flat_workgroup_size: 256
    .name:           _Z6kernelI18scatter_to_blockedaLj256ELj2ELj100EEvPKT0_PKjPS1_
    .private_segment_fixed_size: 0
    .sgpr_count:     16
    .sgpr_spill_count: 0
    .symbol:         _Z6kernelI18scatter_to_blockedaLj256ELj2ELj100EEvPKT0_PKjPS1_.kd
    .uniform_work_group_size: 1
    .uses_dynamic_stack: false
    .vgpr_count:     7
    .vgpr_spill_count: 0
    .wavefront_size: 64
  - .agpr_count:     0
    .args:
      - .address_space:  global
        .offset:         0
        .size:           8
        .value_kind:     global_buffer
      - .address_space:  global
        .offset:         8
        .size:           8
        .value_kind:     global_buffer
      - .address_space:  global
        .offset:         16
        .size:           8
        .value_kind:     global_buffer
    .group_segment_fixed_size: 768
    .kernarg_segment_align: 8
    .kernarg_segment_size: 24
    .language:       OpenCL C
    .language_version:
      - 2
      - 0
    .max_flat_workgroup_size: 256
    .name:           _Z6kernelI18scatter_to_blockedaLj256ELj3ELj100EEvPKT0_PKjPS1_
    .private_segment_fixed_size: 0
    .sgpr_count:     16
    .sgpr_spill_count: 0
    .symbol:         _Z6kernelI18scatter_to_blockedaLj256ELj3ELj100EEvPKT0_PKjPS1_.kd
    .uniform_work_group_size: 1
    .uses_dynamic_stack: false
    .vgpr_count:     8
    .vgpr_spill_count: 0
    .wavefront_size: 64
  - .agpr_count:     0
    .args:
      - .address_space:  global
        .offset:         0
        .size:           8
        .value_kind:     global_buffer
      - .address_space:  global
        .offset:         8
        .size:           8
        .value_kind:     global_buffer
      - .address_space:  global
        .offset:         16
        .size:           8
        .value_kind:     global_buffer
    .group_segment_fixed_size: 1056
    .kernarg_segment_align: 8
    .kernarg_segment_size: 24
    .language:       OpenCL C
    .language_version:
      - 2
      - 0
    .max_flat_workgroup_size: 256
    .name:           _Z6kernelI18scatter_to_blockedaLj256ELj4ELj100EEvPKT0_PKjPS1_
    .private_segment_fixed_size: 0
    .sgpr_count:     16
    .sgpr_spill_count: 0
    .symbol:         _Z6kernelI18scatter_to_blockedaLj256ELj4ELj100EEvPKT0_PKjPS1_.kd
    .uniform_work_group_size: 1
    .uses_dynamic_stack: false
    .vgpr_count:     11
    .vgpr_spill_count: 0
    .wavefront_size: 64
  - .agpr_count:     0
    .args:
      - .address_space:  global
        .offset:         0
        .size:           8
        .value_kind:     global_buffer
      - .address_space:  global
        .offset:         8
        .size:           8
        .value_kind:     global_buffer
      - .address_space:  global
        .offset:         16
        .size:           8
        .value_kind:     global_buffer
    .group_segment_fixed_size: 1792
    .kernarg_segment_align: 8
    .kernarg_segment_size: 24
    .language:       OpenCL C
    .language_version:
      - 2
      - 0
    .max_flat_workgroup_size: 256
    .name:           _Z6kernelI18scatter_to_blockedaLj256ELj7ELj100EEvPKT0_PKjPS1_
    .private_segment_fixed_size: 0
    .sgpr_count:     16
    .sgpr_spill_count: 0
    .symbol:         _Z6kernelI18scatter_to_blockedaLj256ELj7ELj100EEvPKT0_PKjPS1_.kd
    .uniform_work_group_size: 1
    .uses_dynamic_stack: false
    .vgpr_count:     18
    .vgpr_spill_count: 0
    .wavefront_size: 64
  - .agpr_count:     0
    .args:
      - .address_space:  global
        .offset:         0
        .size:           8
        .value_kind:     global_buffer
      - .address_space:  global
        .offset:         8
        .size:           8
        .value_kind:     global_buffer
      - .address_space:  global
        .offset:         16
        .size:           8
        .value_kind:     global_buffer
    .group_segment_fixed_size: 2112
    .kernarg_segment_align: 8
    .kernarg_segment_size: 24
    .language:       OpenCL C
    .language_version:
      - 2
      - 0
    .max_flat_workgroup_size: 256
    .name:           _Z6kernelI18scatter_to_blockedaLj256ELj8ELj100EEvPKT0_PKjPS1_
    .private_segment_fixed_size: 0
    .sgpr_count:     16
    .sgpr_spill_count: 0
    .symbol:         _Z6kernelI18scatter_to_blockedaLj256ELj8ELj100EEvPKT0_PKjPS1_.kd
    .uniform_work_group_size: 1
    .uses_dynamic_stack: false
    .vgpr_count:     19
    .vgpr_spill_count: 0
    .wavefront_size: 64
  - .agpr_count:     0
    .args:
      - .address_space:  global
        .offset:         0
        .size:           8
        .value_kind:     global_buffer
      - .address_space:  global
        .offset:         8
        .size:           8
        .value_kind:     global_buffer
      - .address_space:  global
        .offset:         16
        .size:           8
        .value_kind:     global_buffer
    .group_segment_fixed_size: 2048
    .kernarg_segment_align: 8
    .kernarg_segment_size: 24
    .language:       OpenCL C
    .language_version:
      - 2
      - 0
    .max_flat_workgroup_size: 256
    .name:           _Z6kernelI18scatter_to_blockedxLj256ELj1ELj100EEvPKT0_PKjPS1_
    .private_segment_fixed_size: 0
    .sgpr_count:     16
    .sgpr_spill_count: 0
    .symbol:         _Z6kernelI18scatter_to_blockedxLj256ELj1ELj100EEvPKT0_PKjPS1_.kd
    .uniform_work_group_size: 1
    .uses_dynamic_stack: false
    .vgpr_count:     5
    .vgpr_spill_count: 0
    .wavefront_size: 64
  - .agpr_count:     0
    .args:
      - .address_space:  global
        .offset:         0
        .size:           8
        .value_kind:     global_buffer
      - .address_space:  global
        .offset:         8
        .size:           8
        .value_kind:     global_buffer
      - .address_space:  global
        .offset:         16
        .size:           8
        .value_kind:     global_buffer
    .group_segment_fixed_size: 4224
    .kernarg_segment_align: 8
    .kernarg_segment_size: 24
    .language:       OpenCL C
    .language_version:
      - 2
      - 0
    .max_flat_workgroup_size: 256
    .name:           _Z6kernelI18scatter_to_blockedxLj256ELj2ELj100EEvPKT0_PKjPS1_
    .private_segment_fixed_size: 0
    .sgpr_count:     16
    .sgpr_spill_count: 0
    .symbol:         _Z6kernelI18scatter_to_blockedxLj256ELj2ELj100EEvPKT0_PKjPS1_.kd
    .uniform_work_group_size: 1
    .uses_dynamic_stack: false
    .vgpr_count:     10
    .vgpr_spill_count: 0
    .wavefront_size: 64
  - .agpr_count:     0
    .args:
      - .address_space:  global
        .offset:         0
        .size:           8
        .value_kind:     global_buffer
      - .address_space:  global
        .offset:         8
        .size:           8
        .value_kind:     global_buffer
      - .address_space:  global
        .offset:         16
        .size:           8
        .value_kind:     global_buffer
    .group_segment_fixed_size: 6144
    .kernarg_segment_align: 8
    .kernarg_segment_size: 24
    .language:       OpenCL C
    .language_version:
      - 2
      - 0
    .max_flat_workgroup_size: 256
    .name:           _Z6kernelI18scatter_to_blockedxLj256ELj3ELj100EEvPKT0_PKjPS1_
    .private_segment_fixed_size: 0
    .sgpr_count:     16
    .sgpr_spill_count: 0
    .symbol:         _Z6kernelI18scatter_to_blockedxLj256ELj3ELj100EEvPKT0_PKjPS1_.kd
    .uniform_work_group_size: 1
    .uses_dynamic_stack: false
    .vgpr_count:     14
    .vgpr_spill_count: 0
    .wavefront_size: 64
  - .agpr_count:     0
    .args:
      - .address_space:  global
        .offset:         0
        .size:           8
        .value_kind:     global_buffer
      - .address_space:  global
        .offset:         8
        .size:           8
        .value_kind:     global_buffer
      - .address_space:  global
        .offset:         16
        .size:           8
        .value_kind:     global_buffer
    .group_segment_fixed_size: 8448
    .kernarg_segment_align: 8
    .kernarg_segment_size: 24
    .language:       OpenCL C
    .language_version:
      - 2
      - 0
    .max_flat_workgroup_size: 256
    .name:           _Z6kernelI18scatter_to_blockedxLj256ELj4ELj100EEvPKT0_PKjPS1_
    .private_segment_fixed_size: 0
    .sgpr_count:     16
    .sgpr_spill_count: 0
    .symbol:         _Z6kernelI18scatter_to_blockedxLj256ELj4ELj100EEvPKT0_PKjPS1_.kd
    .uniform_work_group_size: 1
    .uses_dynamic_stack: false
    .vgpr_count:     18
    .vgpr_spill_count: 0
    .wavefront_size: 64
  - .agpr_count:     0
    .args:
      - .address_space:  global
        .offset:         0
        .size:           8
        .value_kind:     global_buffer
      - .address_space:  global
        .offset:         8
        .size:           8
        .value_kind:     global_buffer
      - .address_space:  global
        .offset:         16
        .size:           8
        .value_kind:     global_buffer
    .group_segment_fixed_size: 14336
    .kernarg_segment_align: 8
    .kernarg_segment_size: 24
    .language:       OpenCL C
    .language_version:
      - 2
      - 0
    .max_flat_workgroup_size: 256
    .name:           _Z6kernelI18scatter_to_blockedxLj256ELj7ELj100EEvPKT0_PKjPS1_
    .private_segment_fixed_size: 0
    .sgpr_count:     16
    .sgpr_spill_count: 0
    .symbol:         _Z6kernelI18scatter_to_blockedxLj256ELj7ELj100EEvPKT0_PKjPS1_.kd
    .uniform_work_group_size: 1
    .uses_dynamic_stack: false
    .vgpr_count:     30
    .vgpr_spill_count: 0
    .wavefront_size: 64
  - .agpr_count:     0
    .args:
      - .address_space:  global
        .offset:         0
        .size:           8
        .value_kind:     global_buffer
      - .address_space:  global
        .offset:         8
        .size:           8
        .value_kind:     global_buffer
      - .address_space:  global
        .offset:         16
        .size:           8
        .value_kind:     global_buffer
    .group_segment_fixed_size: 16896
    .kernarg_segment_align: 8
    .kernarg_segment_size: 24
    .language:       OpenCL C
    .language_version:
      - 2
      - 0
    .max_flat_workgroup_size: 256
    .name:           _Z6kernelI18scatter_to_blockedxLj256ELj8ELj100EEvPKT0_PKjPS1_
    .private_segment_fixed_size: 0
    .sgpr_count:     15
    .sgpr_spill_count: 0
    .symbol:         _Z6kernelI18scatter_to_blockedxLj256ELj8ELj100EEvPKT0_PKjPS1_.kd
    .uniform_work_group_size: 1
    .uses_dynamic_stack: false
    .vgpr_count:     30
    .vgpr_spill_count: 0
    .wavefront_size: 64
  - .agpr_count:     0
    .args:
      - .address_space:  global
        .offset:         0
        .size:           8
        .value_kind:     global_buffer
      - .address_space:  global
        .offset:         8
        .size:           8
        .value_kind:     global_buffer
      - .address_space:  global
        .offset:         16
        .size:           8
        .value_kind:     global_buffer
    .group_segment_fixed_size: 2048
    .kernarg_segment_align: 8
    .kernarg_segment_size: 24
    .language:       OpenCL C
    .language_version:
      - 2
      - 0
    .max_flat_workgroup_size: 256
    .name:           _Z6kernelI18scatter_to_blockedN15benchmark_utils11custom_typeIffEELj256ELj1ELj100EEvPKT0_PKjPS4_
    .private_segment_fixed_size: 0
    .sgpr_count:     16
    .sgpr_spill_count: 0
    .symbol:         _Z6kernelI18scatter_to_blockedN15benchmark_utils11custom_typeIffEELj256ELj1ELj100EEvPKT0_PKjPS4_.kd
    .uniform_work_group_size: 1
    .uses_dynamic_stack: false
    .vgpr_count:     5
    .vgpr_spill_count: 0
    .wavefront_size: 64
  - .agpr_count:     0
    .args:
      - .address_space:  global
        .offset:         0
        .size:           8
        .value_kind:     global_buffer
      - .address_space:  global
        .offset:         8
        .size:           8
        .value_kind:     global_buffer
      - .address_space:  global
        .offset:         16
        .size:           8
        .value_kind:     global_buffer
    .group_segment_fixed_size: 4224
    .kernarg_segment_align: 8
    .kernarg_segment_size: 24
    .language:       OpenCL C
    .language_version:
      - 2
      - 0
    .max_flat_workgroup_size: 256
    .name:           _Z6kernelI18scatter_to_blockedN15benchmark_utils11custom_typeIffEELj256ELj2ELj100EEvPKT0_PKjPS4_
    .private_segment_fixed_size: 0
    .sgpr_count:     16
    .sgpr_spill_count: 0
    .symbol:         _Z6kernelI18scatter_to_blockedN15benchmark_utils11custom_typeIffEELj256ELj2ELj100EEvPKT0_PKjPS4_.kd
    .uniform_work_group_size: 1
    .uses_dynamic_stack: false
    .vgpr_count:     10
    .vgpr_spill_count: 0
    .wavefront_size: 64
  - .agpr_count:     0
    .args:
      - .address_space:  global
        .offset:         0
        .size:           8
        .value_kind:     global_buffer
      - .address_space:  global
        .offset:         8
        .size:           8
        .value_kind:     global_buffer
      - .address_space:  global
        .offset:         16
        .size:           8
        .value_kind:     global_buffer
    .group_segment_fixed_size: 6144
    .kernarg_segment_align: 8
    .kernarg_segment_size: 24
    .language:       OpenCL C
    .language_version:
      - 2
      - 0
    .max_flat_workgroup_size: 256
    .name:           _Z6kernelI18scatter_to_blockedN15benchmark_utils11custom_typeIffEELj256ELj3ELj100EEvPKT0_PKjPS4_
    .private_segment_fixed_size: 0
    .sgpr_count:     16
    .sgpr_spill_count: 0
    .symbol:         _Z6kernelI18scatter_to_blockedN15benchmark_utils11custom_typeIffEELj256ELj3ELj100EEvPKT0_PKjPS4_.kd
    .uniform_work_group_size: 1
    .uses_dynamic_stack: false
    .vgpr_count:     14
    .vgpr_spill_count: 0
    .wavefront_size: 64
  - .agpr_count:     0
    .args:
      - .address_space:  global
        .offset:         0
        .size:           8
        .value_kind:     global_buffer
      - .address_space:  global
        .offset:         8
        .size:           8
        .value_kind:     global_buffer
      - .address_space:  global
        .offset:         16
        .size:           8
        .value_kind:     global_buffer
    .group_segment_fixed_size: 8448
    .kernarg_segment_align: 8
    .kernarg_segment_size: 24
    .language:       OpenCL C
    .language_version:
      - 2
      - 0
    .max_flat_workgroup_size: 256
    .name:           _Z6kernelI18scatter_to_blockedN15benchmark_utils11custom_typeIffEELj256ELj4ELj100EEvPKT0_PKjPS4_
    .private_segment_fixed_size: 0
    .sgpr_count:     16
    .sgpr_spill_count: 0
    .symbol:         _Z6kernelI18scatter_to_blockedN15benchmark_utils11custom_typeIffEELj256ELj4ELj100EEvPKT0_PKjPS4_.kd
    .uniform_work_group_size: 1
    .uses_dynamic_stack: false
    .vgpr_count:     18
    .vgpr_spill_count: 0
    .wavefront_size: 64
  - .agpr_count:     0
    .args:
      - .address_space:  global
        .offset:         0
        .size:           8
        .value_kind:     global_buffer
      - .address_space:  global
        .offset:         8
        .size:           8
        .value_kind:     global_buffer
      - .address_space:  global
        .offset:         16
        .size:           8
        .value_kind:     global_buffer
    .group_segment_fixed_size: 14336
    .kernarg_segment_align: 8
    .kernarg_segment_size: 24
    .language:       OpenCL C
    .language_version:
      - 2
      - 0
    .max_flat_workgroup_size: 256
    .name:           _Z6kernelI18scatter_to_blockedN15benchmark_utils11custom_typeIffEELj256ELj7ELj100EEvPKT0_PKjPS4_
    .private_segment_fixed_size: 0
    .sgpr_count:     16
    .sgpr_spill_count: 0
    .symbol:         _Z6kernelI18scatter_to_blockedN15benchmark_utils11custom_typeIffEELj256ELj7ELj100EEvPKT0_PKjPS4_.kd
    .uniform_work_group_size: 1
    .uses_dynamic_stack: false
    .vgpr_count:     30
    .vgpr_spill_count: 0
    .wavefront_size: 64
  - .agpr_count:     0
    .args:
      - .address_space:  global
        .offset:         0
        .size:           8
        .value_kind:     global_buffer
      - .address_space:  global
        .offset:         8
        .size:           8
        .value_kind:     global_buffer
      - .address_space:  global
        .offset:         16
        .size:           8
        .value_kind:     global_buffer
    .group_segment_fixed_size: 16896
    .kernarg_segment_align: 8
    .kernarg_segment_size: 24
    .language:       OpenCL C
    .language_version:
      - 2
      - 0
    .max_flat_workgroup_size: 256
    .name:           _Z6kernelI18scatter_to_blockedN15benchmark_utils11custom_typeIffEELj256ELj8ELj100EEvPKT0_PKjPS4_
    .private_segment_fixed_size: 0
    .sgpr_count:     15
    .sgpr_spill_count: 0
    .symbol:         _Z6kernelI18scatter_to_blockedN15benchmark_utils11custom_typeIffEELj256ELj8ELj100EEvPKT0_PKjPS4_.kd
    .uniform_work_group_size: 1
    .uses_dynamic_stack: false
    .vgpr_count:     30
    .vgpr_spill_count: 0
    .wavefront_size: 64
  - .agpr_count:     0
    .args:
      - .address_space:  global
        .offset:         0
        .size:           8
        .value_kind:     global_buffer
      - .address_space:  global
        .offset:         8
        .size:           8
        .value_kind:     global_buffer
      - .address_space:  global
        .offset:         16
        .size:           8
        .value_kind:     global_buffer
    .group_segment_fixed_size: 4096
    .kernarg_segment_align: 8
    .kernarg_segment_size: 24
    .language:       OpenCL C
    .language_version:
      - 2
      - 0
    .max_flat_workgroup_size: 256
    .name:           _Z6kernelI18scatter_to_blockedN15benchmark_utils11custom_typeIddEELj256ELj1ELj100EEvPKT0_PKjPS4_
    .private_segment_fixed_size: 0
    .sgpr_count:     16
    .sgpr_spill_count: 0
    .symbol:         _Z6kernelI18scatter_to_blockedN15benchmark_utils11custom_typeIddEELj256ELj1ELj100EEvPKT0_PKjPS4_.kd
    .uniform_work_group_size: 1
    .uses_dynamic_stack: false
    .vgpr_count:     7
    .vgpr_spill_count: 0
    .wavefront_size: 64
  - .agpr_count:     0
    .args:
      - .address_space:  global
        .offset:         0
        .size:           8
        .value_kind:     global_buffer
      - .address_space:  global
        .offset:         8
        .size:           8
        .value_kind:     global_buffer
      - .address_space:  global
        .offset:         16
        .size:           8
        .value_kind:     global_buffer
    .group_segment_fixed_size: 8448
    .kernarg_segment_align: 8
    .kernarg_segment_size: 24
    .language:       OpenCL C
    .language_version:
      - 2
      - 0
    .max_flat_workgroup_size: 256
    .name:           _Z6kernelI18scatter_to_blockedN15benchmark_utils11custom_typeIddEELj256ELj2ELj100EEvPKT0_PKjPS4_
    .private_segment_fixed_size: 0
    .sgpr_count:     15
    .sgpr_spill_count: 0
    .symbol:         _Z6kernelI18scatter_to_blockedN15benchmark_utils11custom_typeIddEELj256ELj2ELj100EEvPKT0_PKjPS4_.kd
    .uniform_work_group_size: 1
    .uses_dynamic_stack: false
    .vgpr_count:     14
    .vgpr_spill_count: 0
    .wavefront_size: 64
  - .agpr_count:     0
    .args:
      - .address_space:  global
        .offset:         0
        .size:           8
        .value_kind:     global_buffer
      - .address_space:  global
        .offset:         8
        .size:           8
        .value_kind:     global_buffer
      - .address_space:  global
        .offset:         16
        .size:           8
        .value_kind:     global_buffer
    .group_segment_fixed_size: 12288
    .kernarg_segment_align: 8
    .kernarg_segment_size: 24
    .language:       OpenCL C
    .language_version:
      - 2
      - 0
    .max_flat_workgroup_size: 256
    .name:           _Z6kernelI18scatter_to_blockedN15benchmark_utils11custom_typeIddEELj256ELj3ELj100EEvPKT0_PKjPS4_
    .private_segment_fixed_size: 0
    .sgpr_count:     14
    .sgpr_spill_count: 0
    .symbol:         _Z6kernelI18scatter_to_blockedN15benchmark_utils11custom_typeIddEELj256ELj3ELj100EEvPKT0_PKjPS4_.kd
    .uniform_work_group_size: 1
    .uses_dynamic_stack: false
    .vgpr_count:     19
    .vgpr_spill_count: 0
    .wavefront_size: 64
  - .agpr_count:     0
    .args:
      - .address_space:  global
        .offset:         0
        .size:           8
        .value_kind:     global_buffer
      - .address_space:  global
        .offset:         8
        .size:           8
        .value_kind:     global_buffer
      - .address_space:  global
        .offset:         16
        .size:           8
        .value_kind:     global_buffer
    .group_segment_fixed_size: 16896
    .kernarg_segment_align: 8
    .kernarg_segment_size: 24
    .language:       OpenCL C
    .language_version:
      - 2
      - 0
    .max_flat_workgroup_size: 256
    .name:           _Z6kernelI18scatter_to_blockedN15benchmark_utils11custom_typeIddEELj256ELj4ELj100EEvPKT0_PKjPS4_
    .private_segment_fixed_size: 0
    .sgpr_count:     15
    .sgpr_spill_count: 0
    .symbol:         _Z6kernelI18scatter_to_blockedN15benchmark_utils11custom_typeIddEELj256ELj4ELj100EEvPKT0_PKjPS4_.kd
    .uniform_work_group_size: 1
    .uses_dynamic_stack: false
    .vgpr_count:     26
    .vgpr_spill_count: 0
    .wavefront_size: 64
  - .agpr_count:     0
    .args:
      - .address_space:  global
        .offset:         0
        .size:           8
        .value_kind:     global_buffer
      - .address_space:  global
        .offset:         8
        .size:           8
        .value_kind:     global_buffer
      - .address_space:  global
        .offset:         16
        .size:           8
        .value_kind:     global_buffer
    .group_segment_fixed_size: 28672
    .kernarg_segment_align: 8
    .kernarg_segment_size: 24
    .language:       OpenCL C
    .language_version:
      - 2
      - 0
    .max_flat_workgroup_size: 256
    .name:           _Z6kernelI18scatter_to_blockedN15benchmark_utils11custom_typeIddEELj256ELj7ELj100EEvPKT0_PKjPS4_
    .private_segment_fixed_size: 0
    .sgpr_count:     15
    .sgpr_spill_count: 0
    .symbol:         _Z6kernelI18scatter_to_blockedN15benchmark_utils11custom_typeIddEELj256ELj7ELj100EEvPKT0_PKjPS4_.kd
    .uniform_work_group_size: 1
    .uses_dynamic_stack: false
    .vgpr_count:     41
    .vgpr_spill_count: 0
    .wavefront_size: 64
  - .agpr_count:     0
    .args:
      - .address_space:  global
        .offset:         0
        .size:           8
        .value_kind:     global_buffer
      - .address_space:  global
        .offset:         8
        .size:           8
        .value_kind:     global_buffer
      - .address_space:  global
        .offset:         16
        .size:           8
        .value_kind:     global_buffer
    .group_segment_fixed_size: 33792
    .kernarg_segment_align: 8
    .kernarg_segment_size: 24
    .language:       OpenCL C
    .language_version:
      - 2
      - 0
    .max_flat_workgroup_size: 256
    .name:           _Z6kernelI18scatter_to_blockedN15benchmark_utils11custom_typeIddEELj256ELj8ELj100EEvPKT0_PKjPS4_
    .private_segment_fixed_size: 0
    .sgpr_count:     16
    .sgpr_spill_count: 0
    .symbol:         _Z6kernelI18scatter_to_blockedN15benchmark_utils11custom_typeIddEELj256ELj8ELj100EEvPKT0_PKjPS4_.kd
    .uniform_work_group_size: 1
    .uses_dynamic_stack: false
    .vgpr_count:     46
    .vgpr_spill_count: 0
    .wavefront_size: 64
  - .agpr_count:     0
    .args:
      - .address_space:  global
        .offset:         0
        .size:           8
        .value_kind:     global_buffer
      - .address_space:  global
        .offset:         8
        .size:           8
        .value_kind:     global_buffer
      - .address_space:  global
        .offset:         16
        .size:           8
        .value_kind:     global_buffer
    .group_segment_fixed_size: 1024
    .kernarg_segment_align: 8
    .kernarg_segment_size: 24
    .language:       OpenCL C
    .language_version:
      - 2
      - 0
    .max_flat_workgroup_size: 256
    .name:           _Z6kernelI18scatter_to_stripediLj256ELj1ELj100EEvPKT0_PKjPS1_
    .private_segment_fixed_size: 0
    .sgpr_count:     16
    .sgpr_spill_count: 0
    .symbol:         _Z6kernelI18scatter_to_stripediLj256ELj1ELj100EEvPKT0_PKjPS1_.kd
    .uniform_work_group_size: 1
    .uses_dynamic_stack: false
    .vgpr_count:     4
    .vgpr_spill_count: 0
    .wavefront_size: 64
  - .agpr_count:     0
    .args:
      - .address_space:  global
        .offset:         0
        .size:           8
        .value_kind:     global_buffer
      - .address_space:  global
        .offset:         8
        .size:           8
        .value_kind:     global_buffer
      - .address_space:  global
        .offset:         16
        .size:           8
        .value_kind:     global_buffer
    .group_segment_fixed_size: 2112
    .kernarg_segment_align: 8
    .kernarg_segment_size: 24
    .language:       OpenCL C
    .language_version:
      - 2
      - 0
    .max_flat_workgroup_size: 256
    .name:           _Z6kernelI18scatter_to_stripediLj256ELj2ELj100EEvPKT0_PKjPS1_
    .private_segment_fixed_size: 0
    .sgpr_count:     16
    .sgpr_spill_count: 0
    .symbol:         _Z6kernelI18scatter_to_stripediLj256ELj2ELj100EEvPKT0_PKjPS1_.kd
    .uniform_work_group_size: 1
    .uses_dynamic_stack: false
    .vgpr_count:     6
    .vgpr_spill_count: 0
    .wavefront_size: 64
  - .agpr_count:     0
    .args:
      - .address_space:  global
        .offset:         0
        .size:           8
        .value_kind:     global_buffer
      - .address_space:  global
        .offset:         8
        .size:           8
        .value_kind:     global_buffer
      - .address_space:  global
        .offset:         16
        .size:           8
        .value_kind:     global_buffer
    .group_segment_fixed_size: 3072
    .kernarg_segment_align: 8
    .kernarg_segment_size: 24
    .language:       OpenCL C
    .language_version:
      - 2
      - 0
    .max_flat_workgroup_size: 256
    .name:           _Z6kernelI18scatter_to_stripediLj256ELj3ELj100EEvPKT0_PKjPS1_
    .private_segment_fixed_size: 0
    .sgpr_count:     16
    .sgpr_spill_count: 0
    .symbol:         _Z6kernelI18scatter_to_stripediLj256ELj3ELj100EEvPKT0_PKjPS1_.kd
    .uniform_work_group_size: 1
    .uses_dynamic_stack: false
    .vgpr_count:     8
    .vgpr_spill_count: 0
    .wavefront_size: 64
  - .agpr_count:     0
    .args:
      - .address_space:  global
        .offset:         0
        .size:           8
        .value_kind:     global_buffer
      - .address_space:  global
        .offset:         8
        .size:           8
        .value_kind:     global_buffer
      - .address_space:  global
        .offset:         16
        .size:           8
        .value_kind:     global_buffer
    .group_segment_fixed_size: 4224
    .kernarg_segment_align: 8
    .kernarg_segment_size: 24
    .language:       OpenCL C
    .language_version:
      - 2
      - 0
    .max_flat_workgroup_size: 256
    .name:           _Z6kernelI18scatter_to_stripediLj256ELj4ELj100EEvPKT0_PKjPS1_
    .private_segment_fixed_size: 0
    .sgpr_count:     16
    .sgpr_spill_count: 0
    .symbol:         _Z6kernelI18scatter_to_stripediLj256ELj4ELj100EEvPKT0_PKjPS1_.kd
    .uniform_work_group_size: 1
    .uses_dynamic_stack: false
    .vgpr_count:     10
    .vgpr_spill_count: 0
    .wavefront_size: 64
  - .agpr_count:     0
    .args:
      - .address_space:  global
        .offset:         0
        .size:           8
        .value_kind:     global_buffer
      - .address_space:  global
        .offset:         8
        .size:           8
        .value_kind:     global_buffer
      - .address_space:  global
        .offset:         16
        .size:           8
        .value_kind:     global_buffer
    .group_segment_fixed_size: 7168
    .kernarg_segment_align: 8
    .kernarg_segment_size: 24
    .language:       OpenCL C
    .language_version:
      - 2
      - 0
    .max_flat_workgroup_size: 256
    .name:           _Z6kernelI18scatter_to_stripediLj256ELj7ELj100EEvPKT0_PKjPS1_
    .private_segment_fixed_size: 0
    .sgpr_count:     16
    .sgpr_spill_count: 0
    .symbol:         _Z6kernelI18scatter_to_stripediLj256ELj7ELj100EEvPKT0_PKjPS1_.kd
    .uniform_work_group_size: 1
    .uses_dynamic_stack: false
    .vgpr_count:     20
    .vgpr_spill_count: 0
    .wavefront_size: 64
  - .agpr_count:     0
    .args:
      - .address_space:  global
        .offset:         0
        .size:           8
        .value_kind:     global_buffer
      - .address_space:  global
        .offset:         8
        .size:           8
        .value_kind:     global_buffer
      - .address_space:  global
        .offset:         16
        .size:           8
        .value_kind:     global_buffer
    .group_segment_fixed_size: 8448
    .kernarg_segment_align: 8
    .kernarg_segment_size: 24
    .language:       OpenCL C
    .language_version:
      - 2
      - 0
    .max_flat_workgroup_size: 256
    .name:           _Z6kernelI18scatter_to_stripediLj256ELj8ELj100EEvPKT0_PKjPS1_
    .private_segment_fixed_size: 0
    .sgpr_count:     16
    .sgpr_spill_count: 0
    .symbol:         _Z6kernelI18scatter_to_stripediLj256ELj8ELj100EEvPKT0_PKjPS1_.kd
    .uniform_work_group_size: 1
    .uses_dynamic_stack: false
    .vgpr_count:     22
    .vgpr_spill_count: 0
    .wavefront_size: 64
  - .agpr_count:     0
    .args:
      - .address_space:  global
        .offset:         0
        .size:           8
        .value_kind:     global_buffer
      - .address_space:  global
        .offset:         8
        .size:           8
        .value_kind:     global_buffer
      - .address_space:  global
        .offset:         16
        .size:           8
        .value_kind:     global_buffer
    .group_segment_fixed_size: 256
    .kernarg_segment_align: 8
    .kernarg_segment_size: 24
    .language:       OpenCL C
    .language_version:
      - 2
      - 0
    .max_flat_workgroup_size: 256
    .name:           _Z6kernelI18scatter_to_stripedaLj256ELj1ELj100EEvPKT0_PKjPS1_
    .private_segment_fixed_size: 0
    .sgpr_count:     16
    .sgpr_spill_count: 0
    .symbol:         _Z6kernelI18scatter_to_stripedaLj256ELj1ELj100EEvPKT0_PKjPS1_.kd
    .uniform_work_group_size: 1
    .uses_dynamic_stack: false
    .vgpr_count:     4
    .vgpr_spill_count: 0
    .wavefront_size: 64
  - .agpr_count:     0
    .args:
      - .address_space:  global
        .offset:         0
        .size:           8
        .value_kind:     global_buffer
      - .address_space:  global
        .offset:         8
        .size:           8
        .value_kind:     global_buffer
      - .address_space:  global
        .offset:         16
        .size:           8
        .value_kind:     global_buffer
    .group_segment_fixed_size: 528
    .kernarg_segment_align: 8
    .kernarg_segment_size: 24
    .language:       OpenCL C
    .language_version:
      - 2
      - 0
    .max_flat_workgroup_size: 256
    .name:           _Z6kernelI18scatter_to_stripedaLj256ELj2ELj100EEvPKT0_PKjPS1_
    .private_segment_fixed_size: 0
    .sgpr_count:     16
    .sgpr_spill_count: 0
    .symbol:         _Z6kernelI18scatter_to_stripedaLj256ELj2ELj100EEvPKT0_PKjPS1_.kd
    .uniform_work_group_size: 1
    .uses_dynamic_stack: false
    .vgpr_count:     6
    .vgpr_spill_count: 0
    .wavefront_size: 64
  - .agpr_count:     0
    .args:
      - .address_space:  global
        .offset:         0
        .size:           8
        .value_kind:     global_buffer
      - .address_space:  global
        .offset:         8
        .size:           8
        .value_kind:     global_buffer
      - .address_space:  global
        .offset:         16
        .size:           8
        .value_kind:     global_buffer
    .group_segment_fixed_size: 768
    .kernarg_segment_align: 8
    .kernarg_segment_size: 24
    .language:       OpenCL C
    .language_version:
      - 2
      - 0
    .max_flat_workgroup_size: 256
    .name:           _Z6kernelI18scatter_to_stripedaLj256ELj3ELj100EEvPKT0_PKjPS1_
    .private_segment_fixed_size: 0
    .sgpr_count:     16
    .sgpr_spill_count: 0
    .symbol:         _Z6kernelI18scatter_to_stripedaLj256ELj3ELj100EEvPKT0_PKjPS1_.kd
    .uniform_work_group_size: 1
    .uses_dynamic_stack: false
    .vgpr_count:     9
    .vgpr_spill_count: 0
    .wavefront_size: 64
  - .agpr_count:     0
    .args:
      - .address_space:  global
        .offset:         0
        .size:           8
        .value_kind:     global_buffer
      - .address_space:  global
        .offset:         8
        .size:           8
        .value_kind:     global_buffer
      - .address_space:  global
        .offset:         16
        .size:           8
        .value_kind:     global_buffer
    .group_segment_fixed_size: 1056
    .kernarg_segment_align: 8
    .kernarg_segment_size: 24
    .language:       OpenCL C
    .language_version:
      - 2
      - 0
    .max_flat_workgroup_size: 256
    .name:           _Z6kernelI18scatter_to_stripedaLj256ELj4ELj100EEvPKT0_PKjPS1_
    .private_segment_fixed_size: 0
    .sgpr_count:     16
    .sgpr_spill_count: 0
    .symbol:         _Z6kernelI18scatter_to_stripedaLj256ELj4ELj100EEvPKT0_PKjPS1_.kd
    .uniform_work_group_size: 1
    .uses_dynamic_stack: false
    .vgpr_count:     11
    .vgpr_spill_count: 0
    .wavefront_size: 64
  - .agpr_count:     0
    .args:
      - .address_space:  global
        .offset:         0
        .size:           8
        .value_kind:     global_buffer
      - .address_space:  global
        .offset:         8
        .size:           8
        .value_kind:     global_buffer
      - .address_space:  global
        .offset:         16
        .size:           8
        .value_kind:     global_buffer
    .group_segment_fixed_size: 1792
    .kernarg_segment_align: 8
    .kernarg_segment_size: 24
    .language:       OpenCL C
    .language_version:
      - 2
      - 0
    .max_flat_workgroup_size: 256
    .name:           _Z6kernelI18scatter_to_stripedaLj256ELj7ELj100EEvPKT0_PKjPS1_
    .private_segment_fixed_size: 0
    .sgpr_count:     16
    .sgpr_spill_count: 0
    .symbol:         _Z6kernelI18scatter_to_stripedaLj256ELj7ELj100EEvPKT0_PKjPS1_.kd
    .uniform_work_group_size: 1
    .uses_dynamic_stack: false
    .vgpr_count:     18
    .vgpr_spill_count: 0
    .wavefront_size: 64
  - .agpr_count:     0
    .args:
      - .address_space:  global
        .offset:         0
        .size:           8
        .value_kind:     global_buffer
      - .address_space:  global
        .offset:         8
        .size:           8
        .value_kind:     global_buffer
      - .address_space:  global
        .offset:         16
        .size:           8
        .value_kind:     global_buffer
    .group_segment_fixed_size: 2112
    .kernarg_segment_align: 8
    .kernarg_segment_size: 24
    .language:       OpenCL C
    .language_version:
      - 2
      - 0
    .max_flat_workgroup_size: 256
    .name:           _Z6kernelI18scatter_to_stripedaLj256ELj8ELj100EEvPKT0_PKjPS1_
    .private_segment_fixed_size: 0
    .sgpr_count:     16
    .sgpr_spill_count: 0
    .symbol:         _Z6kernelI18scatter_to_stripedaLj256ELj8ELj100EEvPKT0_PKjPS1_.kd
    .uniform_work_group_size: 1
    .uses_dynamic_stack: false
    .vgpr_count:     20
    .vgpr_spill_count: 0
    .wavefront_size: 64
  - .agpr_count:     0
    .args:
      - .address_space:  global
        .offset:         0
        .size:           8
        .value_kind:     global_buffer
      - .address_space:  global
        .offset:         8
        .size:           8
        .value_kind:     global_buffer
      - .address_space:  global
        .offset:         16
        .size:           8
        .value_kind:     global_buffer
    .group_segment_fixed_size: 2048
    .kernarg_segment_align: 8
    .kernarg_segment_size: 24
    .language:       OpenCL C
    .language_version:
      - 2
      - 0
    .max_flat_workgroup_size: 256
    .name:           _Z6kernelI18scatter_to_stripedxLj256ELj1ELj100EEvPKT0_PKjPS1_
    .private_segment_fixed_size: 0
    .sgpr_count:     16
    .sgpr_spill_count: 0
    .symbol:         _Z6kernelI18scatter_to_stripedxLj256ELj1ELj100EEvPKT0_PKjPS1_.kd
    .uniform_work_group_size: 1
    .uses_dynamic_stack: false
    .vgpr_count:     5
    .vgpr_spill_count: 0
    .wavefront_size: 64
  - .agpr_count:     0
    .args:
      - .address_space:  global
        .offset:         0
        .size:           8
        .value_kind:     global_buffer
      - .address_space:  global
        .offset:         8
        .size:           8
        .value_kind:     global_buffer
      - .address_space:  global
        .offset:         16
        .size:           8
        .value_kind:     global_buffer
    .group_segment_fixed_size: 4224
    .kernarg_segment_align: 8
    .kernarg_segment_size: 24
    .language:       OpenCL C
    .language_version:
      - 2
      - 0
    .max_flat_workgroup_size: 256
    .name:           _Z6kernelI18scatter_to_stripedxLj256ELj2ELj100EEvPKT0_PKjPS1_
    .private_segment_fixed_size: 0
    .sgpr_count:     16
    .sgpr_spill_count: 0
    .symbol:         _Z6kernelI18scatter_to_stripedxLj256ELj2ELj100EEvPKT0_PKjPS1_.kd
    .uniform_work_group_size: 1
    .uses_dynamic_stack: false
    .vgpr_count:     9
    .vgpr_spill_count: 0
    .wavefront_size: 64
  - .agpr_count:     0
    .args:
      - .address_space:  global
        .offset:         0
        .size:           8
        .value_kind:     global_buffer
      - .address_space:  global
        .offset:         8
        .size:           8
        .value_kind:     global_buffer
      - .address_space:  global
        .offset:         16
        .size:           8
        .value_kind:     global_buffer
    .group_segment_fixed_size: 6144
    .kernarg_segment_align: 8
    .kernarg_segment_size: 24
    .language:       OpenCL C
    .language_version:
      - 2
      - 0
    .max_flat_workgroup_size: 256
    .name:           _Z6kernelI18scatter_to_stripedxLj256ELj3ELj100EEvPKT0_PKjPS1_
    .private_segment_fixed_size: 0
    .sgpr_count:     16
    .sgpr_spill_count: 0
    .symbol:         _Z6kernelI18scatter_to_stripedxLj256ELj3ELj100EEvPKT0_PKjPS1_.kd
    .uniform_work_group_size: 1
    .uses_dynamic_stack: false
    .vgpr_count:     12
    .vgpr_spill_count: 0
    .wavefront_size: 64
  - .agpr_count:     0
    .args:
      - .address_space:  global
        .offset:         0
        .size:           8
        .value_kind:     global_buffer
      - .address_space:  global
        .offset:         8
        .size:           8
        .value_kind:     global_buffer
      - .address_space:  global
        .offset:         16
        .size:           8
        .value_kind:     global_buffer
    .group_segment_fixed_size: 8448
    .kernarg_segment_align: 8
    .kernarg_segment_size: 24
    .language:       OpenCL C
    .language_version:
      - 2
      - 0
    .max_flat_workgroup_size: 256
    .name:           _Z6kernelI18scatter_to_stripedxLj256ELj4ELj100EEvPKT0_PKjPS1_
    .private_segment_fixed_size: 0
    .sgpr_count:     16
    .sgpr_spill_count: 0
    .symbol:         _Z6kernelI18scatter_to_stripedxLj256ELj4ELj100EEvPKT0_PKjPS1_.kd
    .uniform_work_group_size: 1
    .uses_dynamic_stack: false
    .vgpr_count:     17
    .vgpr_spill_count: 0
    .wavefront_size: 64
  - .agpr_count:     0
    .args:
      - .address_space:  global
        .offset:         0
        .size:           8
        .value_kind:     global_buffer
      - .address_space:  global
        .offset:         8
        .size:           8
        .value_kind:     global_buffer
      - .address_space:  global
        .offset:         16
        .size:           8
        .value_kind:     global_buffer
    .group_segment_fixed_size: 14336
    .kernarg_segment_align: 8
    .kernarg_segment_size: 24
    .language:       OpenCL C
    .language_version:
      - 2
      - 0
    .max_flat_workgroup_size: 256
    .name:           _Z6kernelI18scatter_to_stripedxLj256ELj7ELj100EEvPKT0_PKjPS1_
    .private_segment_fixed_size: 0
    .sgpr_count:     14
    .sgpr_spill_count: 0
    .symbol:         _Z6kernelI18scatter_to_stripedxLj256ELj7ELj100EEvPKT0_PKjPS1_.kd
    .uniform_work_group_size: 1
    .uses_dynamic_stack: false
    .vgpr_count:     30
    .vgpr_spill_count: 0
    .wavefront_size: 64
  - .agpr_count:     0
    .args:
      - .address_space:  global
        .offset:         0
        .size:           8
        .value_kind:     global_buffer
      - .address_space:  global
        .offset:         8
        .size:           8
        .value_kind:     global_buffer
      - .address_space:  global
        .offset:         16
        .size:           8
        .value_kind:     global_buffer
    .group_segment_fixed_size: 16896
    .kernarg_segment_align: 8
    .kernarg_segment_size: 24
    .language:       OpenCL C
    .language_version:
      - 2
      - 0
    .max_flat_workgroup_size: 256
    .name:           _Z6kernelI18scatter_to_stripedxLj256ELj8ELj100EEvPKT0_PKjPS1_
    .private_segment_fixed_size: 0
    .sgpr_count:     15
    .sgpr_spill_count: 0
    .symbol:         _Z6kernelI18scatter_to_stripedxLj256ELj8ELj100EEvPKT0_PKjPS1_.kd
    .uniform_work_group_size: 1
    .uses_dynamic_stack: false
    .vgpr_count:     33
    .vgpr_spill_count: 0
    .wavefront_size: 64
  - .agpr_count:     0
    .args:
      - .address_space:  global
        .offset:         0
        .size:           8
        .value_kind:     global_buffer
      - .address_space:  global
        .offset:         8
        .size:           8
        .value_kind:     global_buffer
      - .address_space:  global
        .offset:         16
        .size:           8
        .value_kind:     global_buffer
    .group_segment_fixed_size: 2048
    .kernarg_segment_align: 8
    .kernarg_segment_size: 24
    .language:       OpenCL C
    .language_version:
      - 2
      - 0
    .max_flat_workgroup_size: 256
    .name:           _Z6kernelI18scatter_to_stripedN15benchmark_utils11custom_typeIffEELj256ELj1ELj100EEvPKT0_PKjPS4_
    .private_segment_fixed_size: 0
    .sgpr_count:     16
    .sgpr_spill_count: 0
    .symbol:         _Z6kernelI18scatter_to_stripedN15benchmark_utils11custom_typeIffEELj256ELj1ELj100EEvPKT0_PKjPS4_.kd
    .uniform_work_group_size: 1
    .uses_dynamic_stack: false
    .vgpr_count:     5
    .vgpr_spill_count: 0
    .wavefront_size: 64
  - .agpr_count:     0
    .args:
      - .address_space:  global
        .offset:         0
        .size:           8
        .value_kind:     global_buffer
      - .address_space:  global
        .offset:         8
        .size:           8
        .value_kind:     global_buffer
      - .address_space:  global
        .offset:         16
        .size:           8
        .value_kind:     global_buffer
    .group_segment_fixed_size: 4224
    .kernarg_segment_align: 8
    .kernarg_segment_size: 24
    .language:       OpenCL C
    .language_version:
      - 2
      - 0
    .max_flat_workgroup_size: 256
    .name:           _Z6kernelI18scatter_to_stripedN15benchmark_utils11custom_typeIffEELj256ELj2ELj100EEvPKT0_PKjPS4_
    .private_segment_fixed_size: 0
    .sgpr_count:     16
    .sgpr_spill_count: 0
    .symbol:         _Z6kernelI18scatter_to_stripedN15benchmark_utils11custom_typeIffEELj256ELj2ELj100EEvPKT0_PKjPS4_.kd
    .uniform_work_group_size: 1
    .uses_dynamic_stack: false
    .vgpr_count:     9
    .vgpr_spill_count: 0
    .wavefront_size: 64
  - .agpr_count:     0
    .args:
      - .address_space:  global
        .offset:         0
        .size:           8
        .value_kind:     global_buffer
      - .address_space:  global
        .offset:         8
        .size:           8
        .value_kind:     global_buffer
      - .address_space:  global
        .offset:         16
        .size:           8
        .value_kind:     global_buffer
    .group_segment_fixed_size: 6144
    .kernarg_segment_align: 8
    .kernarg_segment_size: 24
    .language:       OpenCL C
    .language_version:
      - 2
      - 0
    .max_flat_workgroup_size: 256
    .name:           _Z6kernelI18scatter_to_stripedN15benchmark_utils11custom_typeIffEELj256ELj3ELj100EEvPKT0_PKjPS4_
    .private_segment_fixed_size: 0
    .sgpr_count:     16
    .sgpr_spill_count: 0
    .symbol:         _Z6kernelI18scatter_to_stripedN15benchmark_utils11custom_typeIffEELj256ELj3ELj100EEvPKT0_PKjPS4_.kd
    .uniform_work_group_size: 1
    .uses_dynamic_stack: false
    .vgpr_count:     12
    .vgpr_spill_count: 0
    .wavefront_size: 64
  - .agpr_count:     0
    .args:
      - .address_space:  global
        .offset:         0
        .size:           8
        .value_kind:     global_buffer
      - .address_space:  global
        .offset:         8
        .size:           8
        .value_kind:     global_buffer
      - .address_space:  global
        .offset:         16
        .size:           8
        .value_kind:     global_buffer
    .group_segment_fixed_size: 8448
    .kernarg_segment_align: 8
    .kernarg_segment_size: 24
    .language:       OpenCL C
    .language_version:
      - 2
      - 0
    .max_flat_workgroup_size: 256
    .name:           _Z6kernelI18scatter_to_stripedN15benchmark_utils11custom_typeIffEELj256ELj4ELj100EEvPKT0_PKjPS4_
    .private_segment_fixed_size: 0
    .sgpr_count:     16
    .sgpr_spill_count: 0
    .symbol:         _Z6kernelI18scatter_to_stripedN15benchmark_utils11custom_typeIffEELj256ELj4ELj100EEvPKT0_PKjPS4_.kd
    .uniform_work_group_size: 1
    .uses_dynamic_stack: false
    .vgpr_count:     17
    .vgpr_spill_count: 0
    .wavefront_size: 64
  - .agpr_count:     0
    .args:
      - .address_space:  global
        .offset:         0
        .size:           8
        .value_kind:     global_buffer
      - .address_space:  global
        .offset:         8
        .size:           8
        .value_kind:     global_buffer
      - .address_space:  global
        .offset:         16
        .size:           8
        .value_kind:     global_buffer
    .group_segment_fixed_size: 14336
    .kernarg_segment_align: 8
    .kernarg_segment_size: 24
    .language:       OpenCL C
    .language_version:
      - 2
      - 0
    .max_flat_workgroup_size: 256
    .name:           _Z6kernelI18scatter_to_stripedN15benchmark_utils11custom_typeIffEELj256ELj7ELj100EEvPKT0_PKjPS4_
    .private_segment_fixed_size: 0
    .sgpr_count:     14
    .sgpr_spill_count: 0
    .symbol:         _Z6kernelI18scatter_to_stripedN15benchmark_utils11custom_typeIffEELj256ELj7ELj100EEvPKT0_PKjPS4_.kd
    .uniform_work_group_size: 1
    .uses_dynamic_stack: false
    .vgpr_count:     30
    .vgpr_spill_count: 0
    .wavefront_size: 64
  - .agpr_count:     0
    .args:
      - .address_space:  global
        .offset:         0
        .size:           8
        .value_kind:     global_buffer
      - .address_space:  global
        .offset:         8
        .size:           8
        .value_kind:     global_buffer
      - .address_space:  global
        .offset:         16
        .size:           8
        .value_kind:     global_buffer
    .group_segment_fixed_size: 16896
    .kernarg_segment_align: 8
    .kernarg_segment_size: 24
    .language:       OpenCL C
    .language_version:
      - 2
      - 0
    .max_flat_workgroup_size: 256
    .name:           _Z6kernelI18scatter_to_stripedN15benchmark_utils11custom_typeIffEELj256ELj8ELj100EEvPKT0_PKjPS4_
    .private_segment_fixed_size: 0
    .sgpr_count:     15
    .sgpr_spill_count: 0
    .symbol:         _Z6kernelI18scatter_to_stripedN15benchmark_utils11custom_typeIffEELj256ELj8ELj100EEvPKT0_PKjPS4_.kd
    .uniform_work_group_size: 1
    .uses_dynamic_stack: false
    .vgpr_count:     33
    .vgpr_spill_count: 0
    .wavefront_size: 64
  - .agpr_count:     0
    .args:
      - .address_space:  global
        .offset:         0
        .size:           8
        .value_kind:     global_buffer
      - .address_space:  global
        .offset:         8
        .size:           8
        .value_kind:     global_buffer
      - .address_space:  global
        .offset:         16
        .size:           8
        .value_kind:     global_buffer
    .group_segment_fixed_size: 4096
    .kernarg_segment_align: 8
    .kernarg_segment_size: 24
    .language:       OpenCL C
    .language_version:
      - 2
      - 0
    .max_flat_workgroup_size: 256
    .name:           _Z6kernelI18scatter_to_stripedN15benchmark_utils11custom_typeIddEELj256ELj1ELj100EEvPKT0_PKjPS4_
    .private_segment_fixed_size: 0
    .sgpr_count:     16
    .sgpr_spill_count: 0
    .symbol:         _Z6kernelI18scatter_to_stripedN15benchmark_utils11custom_typeIddEELj256ELj1ELj100EEvPKT0_PKjPS4_.kd
    .uniform_work_group_size: 1
    .uses_dynamic_stack: false
    .vgpr_count:     7
    .vgpr_spill_count: 0
    .wavefront_size: 64
  - .agpr_count:     0
    .args:
      - .address_space:  global
        .offset:         0
        .size:           8
        .value_kind:     global_buffer
      - .address_space:  global
        .offset:         8
        .size:           8
        .value_kind:     global_buffer
      - .address_space:  global
        .offset:         16
        .size:           8
        .value_kind:     global_buffer
    .group_segment_fixed_size: 8448
    .kernarg_segment_align: 8
    .kernarg_segment_size: 24
    .language:       OpenCL C
    .language_version:
      - 2
      - 0
    .max_flat_workgroup_size: 256
    .name:           _Z6kernelI18scatter_to_stripedN15benchmark_utils11custom_typeIddEELj256ELj2ELj100EEvPKT0_PKjPS4_
    .private_segment_fixed_size: 0
    .sgpr_count:     15
    .sgpr_spill_count: 0
    .symbol:         _Z6kernelI18scatter_to_stripedN15benchmark_utils11custom_typeIddEELj256ELj2ELj100EEvPKT0_PKjPS4_.kd
    .uniform_work_group_size: 1
    .uses_dynamic_stack: false
    .vgpr_count:     12
    .vgpr_spill_count: 0
    .wavefront_size: 64
  - .agpr_count:     0
    .args:
      - .address_space:  global
        .offset:         0
        .size:           8
        .value_kind:     global_buffer
      - .address_space:  global
        .offset:         8
        .size:           8
        .value_kind:     global_buffer
      - .address_space:  global
        .offset:         16
        .size:           8
        .value_kind:     global_buffer
    .group_segment_fixed_size: 12288
    .kernarg_segment_align: 8
    .kernarg_segment_size: 24
    .language:       OpenCL C
    .language_version:
      - 2
      - 0
    .max_flat_workgroup_size: 256
    .name:           _Z6kernelI18scatter_to_stripedN15benchmark_utils11custom_typeIddEELj256ELj3ELj100EEvPKT0_PKjPS4_
    .private_segment_fixed_size: 0
    .sgpr_count:     14
    .sgpr_spill_count: 0
    .symbol:         _Z6kernelI18scatter_to_stripedN15benchmark_utils11custom_typeIddEELj256ELj3ELj100EEvPKT0_PKjPS4_.kd
    .uniform_work_group_size: 1
    .uses_dynamic_stack: false
    .vgpr_count:     20
    .vgpr_spill_count: 0
    .wavefront_size: 64
  - .agpr_count:     0
    .args:
      - .address_space:  global
        .offset:         0
        .size:           8
        .value_kind:     global_buffer
      - .address_space:  global
        .offset:         8
        .size:           8
        .value_kind:     global_buffer
      - .address_space:  global
        .offset:         16
        .size:           8
        .value_kind:     global_buffer
    .group_segment_fixed_size: 16896
    .kernarg_segment_align: 8
    .kernarg_segment_size: 24
    .language:       OpenCL C
    .language_version:
      - 2
      - 0
    .max_flat_workgroup_size: 256
    .name:           _Z6kernelI18scatter_to_stripedN15benchmark_utils11custom_typeIddEELj256ELj4ELj100EEvPKT0_PKjPS4_
    .private_segment_fixed_size: 0
    .sgpr_count:     15
    .sgpr_spill_count: 0
    .symbol:         _Z6kernelI18scatter_to_stripedN15benchmark_utils11custom_typeIddEELj256ELj4ELj100EEvPKT0_PKjPS4_.kd
    .uniform_work_group_size: 1
    .uses_dynamic_stack: false
    .vgpr_count:     22
    .vgpr_spill_count: 0
    .wavefront_size: 64
  - .agpr_count:     0
    .args:
      - .address_space:  global
        .offset:         0
        .size:           8
        .value_kind:     global_buffer
      - .address_space:  global
        .offset:         8
        .size:           8
        .value_kind:     global_buffer
      - .address_space:  global
        .offset:         16
        .size:           8
        .value_kind:     global_buffer
    .group_segment_fixed_size: 28672
    .kernarg_segment_align: 8
    .kernarg_segment_size: 24
    .language:       OpenCL C
    .language_version:
      - 2
      - 0
    .max_flat_workgroup_size: 256
    .name:           _Z6kernelI18scatter_to_stripedN15benchmark_utils11custom_typeIddEELj256ELj7ELj100EEvPKT0_PKjPS4_
    .private_segment_fixed_size: 0
    .sgpr_count:     14
    .sgpr_spill_count: 0
    .symbol:         _Z6kernelI18scatter_to_stripedN15benchmark_utils11custom_typeIddEELj256ELj7ELj100EEvPKT0_PKjPS4_.kd
    .uniform_work_group_size: 1
    .uses_dynamic_stack: false
    .vgpr_count:     42
    .vgpr_spill_count: 0
    .wavefront_size: 64
  - .agpr_count:     0
    .args:
      - .address_space:  global
        .offset:         0
        .size:           8
        .value_kind:     global_buffer
      - .address_space:  global
        .offset:         8
        .size:           8
        .value_kind:     global_buffer
      - .address_space:  global
        .offset:         16
        .size:           8
        .value_kind:     global_buffer
    .group_segment_fixed_size: 33792
    .kernarg_segment_align: 8
    .kernarg_segment_size: 24
    .language:       OpenCL C
    .language_version:
      - 2
      - 0
    .max_flat_workgroup_size: 256
    .name:           _Z6kernelI18scatter_to_stripedN15benchmark_utils11custom_typeIddEELj256ELj8ELj100EEvPKT0_PKjPS4_
    .private_segment_fixed_size: 0
    .sgpr_count:     16
    .sgpr_spill_count: 0
    .symbol:         _Z6kernelI18scatter_to_stripedN15benchmark_utils11custom_typeIddEELj256ELj8ELj100EEvPKT0_PKjPS4_.kd
    .uniform_work_group_size: 1
    .uses_dynamic_stack: false
    .vgpr_count:     43
    .vgpr_spill_count: 0
    .wavefront_size: 64
amdhsa.target:   amdgcn-amd-amdhsa--gfx90a
amdhsa.version:
  - 1
  - 2
...

	.end_amdgpu_metadata
